;; amdgpu-corpus repo=ROCm/rocFFT kind=compiled arch=gfx906 opt=O3
	.text
	.amdgcn_target "amdgcn-amd-amdhsa--gfx906"
	.amdhsa_code_object_version 6
	.protected	bluestein_single_fwd_len765_dim1_half_op_CI_CI ; -- Begin function bluestein_single_fwd_len765_dim1_half_op_CI_CI
	.globl	bluestein_single_fwd_len765_dim1_half_op_CI_CI
	.p2align	8
	.type	bluestein_single_fwd_len765_dim1_half_op_CI_CI,@function
bluestein_single_fwd_len765_dim1_half_op_CI_CI: ; @bluestein_single_fwd_len765_dim1_half_op_CI_CI
; %bb.0:
	v_mul_u32_u24_e32 v1, 0x506, v0
	s_load_dwordx4 s[0:3], s[4:5], 0x28
	v_lshrrev_b32_e32 v1, 16, v1
	v_mad_u64_u32 v[8:9], s[6:7], s6, 5, v[1:2]
	v_mov_b32_e32 v9, 0
	s_waitcnt lgkmcnt(0)
	v_cmp_gt_u64_e32 vcc, s[0:1], v[8:9]
	s_and_saveexec_b64 s[0:1], vcc
	s_cbranch_execz .LBB0_15
; %bb.1:
	s_mov_b32 s0, 0xcccccccd
	v_mul_hi_u32 v2, v8, s0
	v_mul_lo_u16_e32 v1, 51, v1
	s_load_dwordx2 s[6:7], s[4:5], 0x0
	s_load_dwordx2 s[12:13], s[4:5], 0x38
	v_sub_u16_e32 v47, v0, v1
	v_lshrrev_b32_e32 v0, 2, v2
	v_lshl_add_u32 v0, v0, 2, v0
	v_sub_u32_e32 v0, v8, v0
	v_mul_u32_u24_e32 v46, 0x2fd, v0
	v_cmp_gt_u16_e32 vcc, 45, v47
	v_lshlrev_b32_e32 v45, 2, v47
	v_lshlrev_b32_e32 v48, 2, v46
	s_and_saveexec_b64 s[8:9], vcc
	s_cbranch_execz .LBB0_3
; %bb.2:
	s_load_dwordx2 s[0:1], s[4:5], 0x18
	v_lshl_add_u32 v13, v47, 2, v48
	v_add_u32_e32 v14, v48, v45
	s_waitcnt lgkmcnt(0)
	s_load_dwordx4 s[16:19], s[0:1], 0x0
	s_waitcnt lgkmcnt(0)
	v_mad_u64_u32 v[0:1], s[0:1], s18, v8, 0
	v_mad_u64_u32 v[2:3], s[0:1], s16, v47, 0
	;; [unrolled: 1-line block ×4, first 2 shown]
	v_mov_b32_e32 v1, v4
	v_lshlrev_b64 v[0:1], 2, v[0:1]
	v_mov_b32_e32 v3, v5
	v_mov_b32_e32 v6, s3
	v_lshlrev_b64 v[2:3], 2, v[2:3]
	v_add_co_u32_e64 v0, s[0:1], s2, v0
	v_addc_co_u32_e64 v1, s[0:1], v6, v1, s[0:1]
	v_add_co_u32_e64 v0, s[0:1], v0, v2
	v_addc_co_u32_e64 v1, s[0:1], v1, v3, s[0:1]
	s_mul_i32 s0, s17, 0xb4
	s_mul_hi_u32 s2, s16, 0xb4
	s_add_i32 s2, s2, s0
	s_mul_i32 s3, s16, 0xb4
	v_mov_b32_e32 v3, s2
	v_add_co_u32_e64 v2, s[0:1], s3, v0
	v_addc_co_u32_e64 v3, s[0:1], v1, v3, s[0:1]
	global_load_dword v4, v[0:1], off
	global_load_dword v5, v[2:3], off
	global_load_dword v6, v45, s[6:7]
	global_load_dword v7, v45, s[6:7] offset:180
	v_mov_b32_e32 v1, s2
	v_add_co_u32_e64 v0, s[0:1], s3, v2
	v_addc_co_u32_e64 v1, s[0:1], v3, v1, s[0:1]
	global_load_dword v2, v[0:1], off
	global_load_dword v3, v45, s[6:7] offset:360
	v_mov_b32_e32 v9, s2
	v_add_co_u32_e64 v0, s[0:1], s3, v0
	v_addc_co_u32_e64 v1, s[0:1], v1, v9, s[0:1]
	global_load_dword v9, v[0:1], off
	;; [unrolled: 5-line block ×3, first 2 shown]
	global_load_dword v12, v45, s[6:7] offset:720
	v_mov_b32_e32 v18, s2
	v_add_co_u32_e64 v0, s[0:1], s3, v0
	v_addc_co_u32_e64 v1, s[0:1], v1, v18, s[0:1]
	global_load_dword v15, v45, s[6:7] offset:900
	global_load_dword v16, v45, s[6:7] offset:1080
	;; [unrolled: 1-line block ×3, first 2 shown]
	v_mov_b32_e32 v19, s2
	global_load_dword v18, v[0:1], off
	v_add_co_u32_e64 v0, s[0:1], s3, v0
	v_addc_co_u32_e64 v1, s[0:1], v1, v19, s[0:1]
	v_mov_b32_e32 v20, s2
	global_load_dword v19, v[0:1], off
	v_add_co_u32_e64 v0, s[0:1], s3, v0
	v_addc_co_u32_e64 v1, s[0:1], v1, v20, s[0:1]
	v_mov_b32_e32 v25, s2
	v_mov_b32_e32 v27, s2
	;; [unrolled: 1-line block ×4, first 2 shown]
	s_waitcnt vmcnt(14)
	v_lshrrev_b32_e32 v20, 16, v4
	s_waitcnt vmcnt(12)
	v_mul_f16_sdwa v21, v6, v4 dst_sel:DWORD dst_unused:UNUSED_PAD src0_sel:WORD_1 src1_sel:DWORD
	v_mul_f16_sdwa v22, v6, v20 dst_sel:DWORD dst_unused:UNUSED_PAD src0_sel:WORD_1 src1_sel:DWORD
	v_fma_f16 v20, v6, v20, -v21
	v_lshrrev_b32_e32 v21, 16, v5
	s_waitcnt vmcnt(11)
	v_mul_f16_sdwa v23, v7, v5 dst_sel:DWORD dst_unused:UNUSED_PAD src0_sel:WORD_1 src1_sel:DWORD
	v_fma_f16 v4, v6, v4, v22
	v_mul_f16_sdwa v6, v7, v21 dst_sel:DWORD dst_unused:UNUSED_PAD src0_sel:WORD_1 src1_sel:DWORD
	s_waitcnt vmcnt(10)
	v_lshrrev_b32_e32 v22, 16, v2
	v_fma_f16 v21, v7, v21, -v23
	s_waitcnt vmcnt(9)
	v_mul_f16_sdwa v23, v3, v2 dst_sel:DWORD dst_unused:UNUSED_PAD src0_sel:WORD_1 src1_sel:DWORD
	v_fma_f16 v5, v7, v5, v6
	v_mul_f16_sdwa v6, v3, v22 dst_sel:DWORD dst_unused:UNUSED_PAD src0_sel:WORD_1 src1_sel:DWORD
	v_pack_b32_f16 v4, v4, v20
	v_fma_f16 v7, v3, v22, -v23
	v_fma_f16 v2, v3, v2, v6
	s_waitcnt vmcnt(8)
	v_lshrrev_b32_e32 v20, 16, v9
	ds_write_b32 v13, v4
	v_pack_b32_f16 v4, v5, v21
	v_pack_b32_f16 v2, v2, v7
	s_waitcnt vmcnt(7)
	v_mul_f16_sdwa v22, v10, v9 dst_sel:DWORD dst_unused:UNUSED_PAD src0_sel:WORD_1 src1_sel:DWORD
	v_mul_f16_sdwa v3, v10, v20 dst_sel:DWORD dst_unused:UNUSED_PAD src0_sel:WORD_1 src1_sel:DWORD
	ds_write2_b32 v14, v4, v2 offset0:45 offset1:90
	global_load_dword v4, v[0:1], off
	v_fma_f16 v5, v10, v20, -v22
	v_fma_f16 v3, v10, v9, v3
	s_waitcnt vmcnt(7)
	v_lshrrev_b32_e32 v6, 16, v11
	v_pack_b32_f16 v2, v3, v5
	v_mov_b32_e32 v5, s2
	v_add_co_u32_e64 v0, s[0:1], s3, v0
	s_waitcnt vmcnt(6)
	v_mul_f16_sdwa v7, v12, v6 dst_sel:DWORD dst_unused:UNUSED_PAD src0_sel:WORD_1 src1_sel:DWORD
	v_addc_co_u32_e64 v1, s[0:1], v1, v5, s[0:1]
	v_fma_f16 v3, v12, v11, v7
	global_load_dword v5, v[0:1], off
	global_load_dword v7, v45, s[6:7] offset:1440
	v_mov_b32_e32 v9, s2
	v_add_co_u32_e64 v0, s[0:1], s3, v0
	v_addc_co_u32_e64 v1, s[0:1], v1, v9, s[0:1]
	global_load_dword v9, v[0:1], off
	global_load_dword v10, v45, s[6:7] offset:1620
	v_mul_f16_sdwa v13, v12, v11 dst_sel:DWORD dst_unused:UNUSED_PAD src0_sel:WORD_1 src1_sel:DWORD
	v_mov_b32_e32 v11, s2
	v_add_co_u32_e64 v0, s[0:1], s3, v0
	v_addc_co_u32_e64 v1, s[0:1], v1, v11, s[0:1]
	global_load_dword v11, v[0:1], off
	global_load_dword v20, v45, s[6:7] offset:1800
	v_mov_b32_e32 v21, s2
	v_add_co_u32_e64 v0, s[0:1], s3, v0
	v_addc_co_u32_e64 v1, s[0:1], v1, v21, s[0:1]
	global_load_dword v21, v[0:1], off
	global_load_dword v22, v45, s[6:7] offset:1980
	;; [unrolled: 5-line block ×3, first 2 shown]
	v_add_co_u32_e64 v0, s[0:1], s3, v0
	v_addc_co_u32_e64 v1, s[0:1], v1, v25, s[0:1]
	global_load_dword v25, v[0:1], off
	global_load_dword v26, v45, s[6:7] offset:2340
	v_add_co_u32_e64 v0, s[0:1], s3, v0
	v_addc_co_u32_e64 v1, s[0:1], v1, v27, s[0:1]
	global_load_dword v27, v[0:1], off
	global_load_dword v28, v45, s[6:7] offset:2520
	;; [unrolled: 4-line block ×4, first 2 shown]
	v_fma_f16 v0, v12, v6, -v13
	v_pack_b32_f16 v0, v3, v0
	ds_write2_b32 v14, v2, v0 offset0:135 offset1:180
	s_waitcnt vmcnt(20)
	v_lshrrev_b32_e32 v0, 16, v18
	v_mul_f16_sdwa v1, v15, v0 dst_sel:DWORD dst_unused:UNUSED_PAD src0_sel:WORD_1 src1_sel:DWORD
	v_mul_f16_sdwa v2, v15, v18 dst_sel:DWORD dst_unused:UNUSED_PAD src0_sel:WORD_1 src1_sel:DWORD
	v_fma_f16 v1, v15, v18, v1
	v_fma_f16 v0, v15, v0, -v2
	v_pack_b32_f16 v0, v1, v0
	s_waitcnt vmcnt(19)
	v_lshrrev_b32_e32 v1, 16, v19
	v_mul_f16_sdwa v2, v16, v1 dst_sel:DWORD dst_unused:UNUSED_PAD src0_sel:WORD_1 src1_sel:DWORD
	v_mul_f16_sdwa v3, v16, v19 dst_sel:DWORD dst_unused:UNUSED_PAD src0_sel:WORD_1 src1_sel:DWORD
	v_fma_f16 v2, v16, v19, v2
	v_fma_f16 v1, v16, v1, -v3
	v_pack_b32_f16 v1, v2, v1
	v_add_u32_e32 v2, 0x200, v14
	ds_write2_b32 v2, v0, v1 offset0:97 offset1:142
	s_waitcnt vmcnt(18)
	v_lshrrev_b32_e32 v0, 16, v4
	v_mul_f16_sdwa v1, v17, v0 dst_sel:DWORD dst_unused:UNUSED_PAD src0_sel:WORD_1 src1_sel:DWORD
	v_mul_f16_sdwa v2, v17, v4 dst_sel:DWORD dst_unused:UNUSED_PAD src0_sel:WORD_1 src1_sel:DWORD
	v_fma_f16 v1, v17, v4, v1
	v_fma_f16 v0, v17, v0, -v2
	v_pack_b32_f16 v0, v1, v0
	s_waitcnt vmcnt(17)
	v_lshrrev_b32_e32 v1, 16, v5
	s_waitcnt vmcnt(16)
	v_mul_f16_sdwa v2, v7, v1 dst_sel:DWORD dst_unused:UNUSED_PAD src0_sel:WORD_1 src1_sel:DWORD
	v_mul_f16_sdwa v3, v7, v5 dst_sel:DWORD dst_unused:UNUSED_PAD src0_sel:WORD_1 src1_sel:DWORD
	v_fma_f16 v2, v7, v5, v2
	v_fma_f16 v1, v7, v1, -v3
	v_pack_b32_f16 v1, v2, v1
	v_add_u32_e32 v2, 0x400, v14
	ds_write2_b32 v2, v0, v1 offset0:59 offset1:104
	s_waitcnt vmcnt(15)
	v_lshrrev_b32_e32 v0, 16, v9
	s_waitcnt vmcnt(14)
	v_mul_f16_sdwa v1, v10, v0 dst_sel:DWORD dst_unused:UNUSED_PAD src0_sel:WORD_1 src1_sel:DWORD
	v_mul_f16_sdwa v3, v10, v9 dst_sel:DWORD dst_unused:UNUSED_PAD src0_sel:WORD_1 src1_sel:DWORD
	v_fma_f16 v1, v10, v9, v1
	v_fma_f16 v0, v10, v0, -v3
	v_pack_b32_f16 v0, v1, v0
	s_waitcnt vmcnt(13)
	v_lshrrev_b32_e32 v1, 16, v11
	s_waitcnt vmcnt(12)
	v_mul_f16_sdwa v3, v20, v1 dst_sel:DWORD dst_unused:UNUSED_PAD src0_sel:WORD_1 src1_sel:DWORD
	v_mul_f16_sdwa v4, v20, v11 dst_sel:DWORD dst_unused:UNUSED_PAD src0_sel:WORD_1 src1_sel:DWORD
	v_fma_f16 v3, v20, v11, v3
	v_fma_f16 v1, v20, v1, -v4
	v_pack_b32_f16 v1, v3, v1
	ds_write2_b32 v2, v0, v1 offset0:149 offset1:194
	s_waitcnt vmcnt(11)
	v_lshrrev_b32_e32 v0, 16, v21
	s_waitcnt vmcnt(10)
	v_mul_f16_sdwa v1, v22, v0 dst_sel:DWORD dst_unused:UNUSED_PAD src0_sel:WORD_1 src1_sel:DWORD
	v_mul_f16_sdwa v2, v22, v21 dst_sel:DWORD dst_unused:UNUSED_PAD src0_sel:WORD_1 src1_sel:DWORD
	v_fma_f16 v1, v22, v21, v1
	v_fma_f16 v0, v22, v0, -v2
	v_pack_b32_f16 v0, v1, v0
	s_waitcnt vmcnt(9)
	v_lshrrev_b32_e32 v1, 16, v23
	s_waitcnt vmcnt(8)
	v_mul_f16_sdwa v2, v24, v1 dst_sel:DWORD dst_unused:UNUSED_PAD src0_sel:WORD_1 src1_sel:DWORD
	v_mul_f16_sdwa v3, v24, v23 dst_sel:DWORD dst_unused:UNUSED_PAD src0_sel:WORD_1 src1_sel:DWORD
	v_fma_f16 v2, v24, v23, v2
	v_fma_f16 v1, v24, v1, -v3
	v_pack_b32_f16 v1, v2, v1
	v_add_u32_e32 v2, 0x600, v14
	ds_write2_b32 v2, v0, v1 offset0:111 offset1:156
	s_waitcnt vmcnt(7)
	v_lshrrev_b32_e32 v0, 16, v25
	s_waitcnt vmcnt(6)
	v_mul_f16_sdwa v1, v26, v0 dst_sel:DWORD dst_unused:UNUSED_PAD src0_sel:WORD_1 src1_sel:DWORD
	v_mul_f16_sdwa v2, v26, v25 dst_sel:DWORD dst_unused:UNUSED_PAD src0_sel:WORD_1 src1_sel:DWORD
	v_fma_f16 v1, v26, v25, v1
	v_fma_f16 v0, v26, v0, -v2
	v_pack_b32_f16 v0, v1, v0
	s_waitcnt vmcnt(5)
	v_lshrrev_b32_e32 v1, 16, v27
	s_waitcnt vmcnt(4)
	v_mul_f16_sdwa v2, v28, v1 dst_sel:DWORD dst_unused:UNUSED_PAD src0_sel:WORD_1 src1_sel:DWORD
	v_mul_f16_sdwa v3, v28, v27 dst_sel:DWORD dst_unused:UNUSED_PAD src0_sel:WORD_1 src1_sel:DWORD
	v_fma_f16 v2, v28, v27, v2
	v_fma_f16 v1, v28, v1, -v3
	v_pack_b32_f16 v1, v2, v1
	v_add_u32_e32 v2, 0x800, v14
	ds_write2_b32 v2, v0, v1 offset0:73 offset1:118
	s_waitcnt vmcnt(3)
	v_lshrrev_b32_e32 v0, 16, v29
	s_waitcnt vmcnt(2)
	v_mul_f16_sdwa v1, v30, v0 dst_sel:DWORD dst_unused:UNUSED_PAD src0_sel:WORD_1 src1_sel:DWORD
	v_mul_f16_sdwa v3, v30, v29 dst_sel:DWORD dst_unused:UNUSED_PAD src0_sel:WORD_1 src1_sel:DWORD
	v_fma_f16 v1, v30, v29, v1
	v_fma_f16 v0, v30, v0, -v3
	v_pack_b32_f16 v0, v1, v0
	s_waitcnt vmcnt(1)
	v_lshrrev_b32_e32 v1, 16, v31
	s_waitcnt vmcnt(0)
	v_mul_f16_sdwa v3, v32, v1 dst_sel:DWORD dst_unused:UNUSED_PAD src0_sel:WORD_1 src1_sel:DWORD
	v_mul_f16_sdwa v4, v32, v31 dst_sel:DWORD dst_unused:UNUSED_PAD src0_sel:WORD_1 src1_sel:DWORD
	v_fma_f16 v3, v32, v31, v3
	v_fma_f16 v1, v32, v1, -v4
	v_pack_b32_f16 v1, v3, v1
	ds_write2_b32 v2, v0, v1 offset0:163 offset1:208
.LBB0_3:
	s_or_b64 exec, exec, s[8:9]
	s_load_dwordx2 s[0:1], s[4:5], 0x20
	s_load_dwordx2 s[2:3], s[4:5], 0x8
	v_mov_b32_e32 v0, 0
	s_waitcnt lgkmcnt(0)
	s_barrier
	s_waitcnt lgkmcnt(0)
                                        ; implicit-def: $vgpr9
                                        ; implicit-def: $vgpr3
                                        ; implicit-def: $vgpr7
                                        ; implicit-def: $vgpr5
                                        ; implicit-def: $vgpr12
                                        ; implicit-def: $vgpr14
                                        ; implicit-def: $vgpr16
                                        ; implicit-def: $vgpr18
                                        ; implicit-def: $vgpr42
	s_and_saveexec_b64 s[4:5], vcc
	s_cbranch_execz .LBB0_5
; %bb.4:
	v_lshl_add_u32 v9, v46, 2, v45
	v_add_u32_e32 v2, 0x400, v9
	ds_read2_b32 v[0:1], v9 offset1:45
	ds_read2_b32 v[17:18], v9 offset0:90 offset1:135
	ds_read2_b32 v[15:16], v9 offset0:180 offset1:225
	;; [unrolled: 1-line block ×5, first 2 shown]
	v_add_u32_e32 v2, 0x800, v9
	ds_read2_b32 v[6:7], v2 offset0:28 offset1:73
	ds_read2_b32 v[2:3], v2 offset0:118 offset1:163
	ds_read_b32 v9, v9 offset:2880
	s_waitcnt lgkmcnt(7)
	v_alignbit_b32 v42, v17, v17, 16
.LBB0_5:
	s_or_b64 exec, exec, s[4:5]
	s_waitcnt lgkmcnt(0)
	v_pk_add_f16 v20, v9, v1
	v_pk_add_f16 v17, v1, v9 neg_lo:[0,1] neg_hi:[0,1]
	v_lshrrev_b32_e32 v32, 16, v20
	s_movk_i32 s9, 0x39e9
	v_mul_f16_e32 v55, 0xb964, v17
	s_mov_b32 s24, 0xb5c8
	v_fma_f16 v19, v32, s9, -v55
	s_movk_i32 s8, 0x3b76
	v_mul_f16_sdwa v43, v17, s24 dst_sel:DWORD dst_unused:UNUSED_PAD src0_sel:WORD_1 src1_sel:DWORD
	s_mov_b32 s27, 0xb964
	v_add_f16_sdwa v21, v19, v0 dst_sel:DWORD dst_unused:UNUSED_PAD src0_sel:DWORD src1_sel:WORD_1
	v_pk_add_f16 v19, v3, v42 op_sel:[1,0] op_sel_hi:[0,1]
	v_pk_add_f16 v22, v42, v3 op_sel:[1,0] op_sel_hi:[0,1] neg_lo:[0,1] neg_hi:[0,1]
	v_fma_f16 v10, v20, s8, v43
	v_lshrrev_b32_e32 v29, 16, v19
	v_mul_f16_sdwa v44, v22, s27 dst_sel:DWORD dst_unused:UNUSED_PAD src0_sel:WORD_1 src1_sel:DWORD
	v_add_f16_e32 v10, v10, v0
	v_fma_f16 v23, v29, s9, v44
	s_movk_i32 s10, 0x2de8
	v_mul_f16_e32 v57, 0xbbf7, v22
	v_add_f16_e32 v10, v23, v10
	v_fma_f16 v23, v19, s10, -v57
	v_add_f16_e32 v23, v23, v21
	v_pk_add_f16 v21, v18, v2 neg_lo:[0,1] neg_hi:[0,1]
	s_mov_b32 s26, 0xbb29
	v_pk_add_f16 v24, v2, v18
	s_movk_i32 s14, 0x3722
	v_mul_f16_sdwa v53, v21, s26 dst_sel:DWORD dst_unused:UNUSED_PAD src0_sel:WORD_1 src1_sel:DWORD
	v_fma_f16 v25, v24, s14, v53
	v_lshrrev_b32_e32 v36, 16, v24
	s_mov_b32 s15, 0xb8d2
	v_mul_f16_e32 v59, 0xba62, v21
	v_add_f16_e32 v10, v25, v10
	v_fma_f16 v25, v36, s15, -v59
	s_mov_b32 s25, 0xbbf7
	v_add_f16_e32 v25, v25, v23
	v_pk_add_f16 v23, v15, v7 neg_lo:[0,1] neg_hi:[0,1]
	v_pk_add_f16 v26, v7, v15
	v_mul_f16_sdwa v54, v23, s25 dst_sel:DWORD dst_unused:UNUSED_PAD src0_sel:WORD_1 src1_sel:DWORD
	v_fma_f16 v27, v26, s10, v54
	v_lshrrev_b32_e32 v37, 16, v26
	s_mov_b32 s19, 0xbbdd
	v_mul_f16_e32 v61, 0xb1e1, v23
	v_add_f16_e32 v10, v27, v10
	v_fma_f16 v27, v37, s19, -v61
	v_add_f16_e32 v27, v27, v25
	v_pk_add_f16 v25, v16, v6 neg_lo:[0,1] neg_hi:[0,1]
	s_mov_b32 s16, 0xbbb2
	v_pk_add_f16 v28, v6, v16
	s_mov_b32 s18, 0xb461
	v_mul_f16_sdwa v56, v25, s16 dst_sel:DWORD dst_unused:UNUSED_PAD src0_sel:WORD_1 src1_sel:DWORD
	v_fma_f16 v30, v28, s18, v56
	v_lshrrev_b32_e32 v38, 16, v28
	s_mov_b32 s20, 0xbacd
	v_mul_f16_e32 v63, 0x3836, v25
	v_add_f16_e32 v10, v30, v10
	v_fma_f16 v30, v38, s20, -v63
	s_mov_b32 s11, 0xba62
	v_add_f16_e32 v30, v30, v27
	v_pk_add_f16 v27, v13, v5 neg_lo:[0,1] neg_hi:[0,1]
	v_pk_add_f16 v31, v5, v13
	v_mul_f16_sdwa v58, v27, s11 dst_sel:DWORD dst_unused:UNUSED_PAD src0_sel:WORD_1 src1_sel:DWORD
	v_fma_f16 v33, v31, s15, v58
	v_lshrrev_b32_e32 v39, 16, v31
	v_mul_f16_e32 v64, 0x3bb2, v27
	v_add_f16_e32 v10, v33, v10
	v_fma_f16 v33, v39, s18, -v64
	v_add_f16_e32 v33, v33, v30
	v_pk_add_f16 v30, v14, v4 neg_lo:[0,1] neg_hi:[0,1]
	s_mov_b32 s21, 0xb836
	v_pk_add_f16 v34, v4, v14
	v_mul_f16_sdwa v60, v30, s21 dst_sel:DWORD dst_unused:UNUSED_PAD src0_sel:WORD_1 src1_sel:DWORD
	v_fma_f16 v35, v34, s20, v60
	v_lshrrev_b32_e32 v40, 16, v34
	v_mul_f16_e32 v65, 0x3b29, v30
	v_add_f16_e32 v10, v35, v10
	v_fma_f16 v35, v40, s14, -v65
	s_mov_b32 s17, 0xb1e1
	v_add_f16_e32 v49, v35, v33
	v_pk_add_f16 v33, v11, v12 neg_lo:[0,1] neg_hi:[0,1]
	v_pk_add_f16 v35, v12, v11
	v_mul_f16_sdwa v62, v33, s17 dst_sel:DWORD dst_unused:UNUSED_PAD src0_sel:WORD_1 src1_sel:DWORD
	v_fma_f16 v41, v35, s19, v62
	v_add_f16_e32 v50, v41, v10
	v_lshrrev_b32_e32 v41, 16, v35
	v_mul_f16_e32 v66, 0x35c8, v33
	v_fma_f16 v10, v41, s8, -v66
	s_mov_b32 s4, 0x3b7639e9
	v_add_f16_e32 v51, v10, v49
	s_mov_b32 s5, 0xb964b5c8
	v_pk_mul_f16 v10, v20, s4
	v_pk_fma_f16 v67, v17, s5, v10 op_sel:[0,0,1] op_sel_hi:[1,1,0] neg_lo:[1,0,0] neg_hi:[1,0,0]
	v_pk_fma_f16 v68, v17, s5, v10 op_sel:[0,0,1] op_sel_hi:[1,1,0]
	s_mov_b32 s5, 0xbbf7b964
	s_mov_b32 s4, 0x2de839e9
	v_pk_mul_f16 v10, v22, s5
	v_pk_fma_f16 v69, v19, s4, v10 neg_lo:[0,0,1] neg_hi:[0,0,1]
	v_pk_fma_f16 v70, v19, s4, v10
	s_mov_b32 s4, 0x3722b8d2
	s_mov_b32 s5, 0xba62bb29
	v_pk_mul_f16 v10, v24, s4
	s_mov_b32 s4, 0x2de8bbdd
	v_pk_fma_f16 v71, v21, s5, v10 op_sel:[0,0,1] op_sel_hi:[1,1,0] neg_lo:[1,0,0] neg_hi:[1,0,0]
	v_pk_fma_f16 v72, v21, s5, v10 op_sel:[0,0,1] op_sel_hi:[1,1,0]
	s_mov_b32 s5, 0xb1e1bbf7
	v_pk_mul_f16 v10, v26, s4
	s_mov_b32 s4, 0xb461bacd
	v_pk_fma_f16 v73, v23, s5, v10 op_sel:[0,0,1] op_sel_hi:[1,1,0] neg_lo:[1,0,0] neg_hi:[1,0,0]
	v_pk_fma_f16 v74, v23, s5, v10 op_sel:[0,0,1] op_sel_hi:[1,1,0]
	;; [unrolled: 5-line block ×4, first 2 shown]
	s_mov_b32 s5, 0x3b29b836
	v_pk_mul_f16 v10, v34, s4
	v_pk_fma_f16 v79, v30, s5, v10 op_sel:[0,0,1] op_sel_hi:[1,1,0] neg_lo:[1,0,0] neg_hi:[1,0,0]
	v_pk_fma_f16 v80, v30, s5, v10 op_sel:[0,0,1] op_sel_hi:[1,1,0]
	v_add_f16_sdwa v10, v67, v0 dst_sel:DWORD dst_unused:UNUSED_PAD src0_sel:DWORD src1_sel:WORD_1
	v_add_f16_e32 v10, v69, v10
	v_add_f16_e32 v10, v71, v10
	;; [unrolled: 1-line block ×3, first 2 shown]
	s_mov_b32 s4, 0xbbdd3b76
	v_add_f16_e32 v10, v75, v10
	s_mov_b32 s5, 0x35c8b1e1
	v_add_f16_e32 v10, v77, v10
	v_pk_mul_f16 v49, v35, s4
	v_add_f16_e32 v10, v79, v10
	v_pk_fma_f16 v81, v33, s5, v49 op_sel:[0,0,1] op_sel_hi:[1,1,0] neg_lo:[1,0,0] neg_hi:[1,0,0]
	v_add_f16_e32 v52, v81, v10
	v_add_f16_sdwa v10, v68, v0 dst_sel:DWORD dst_unused:UNUSED_PAD src0_sel:WORD_1 src1_sel:DWORD
	v_add_f16_sdwa v10, v70, v10 dst_sel:DWORD dst_unused:UNUSED_PAD src0_sel:WORD_1 src1_sel:DWORD
	v_add_f16_sdwa v10, v72, v10 dst_sel:DWORD dst_unused:UNUSED_PAD src0_sel:WORD_1 src1_sel:DWORD
	v_add_f16_sdwa v10, v74, v10 dst_sel:DWORD dst_unused:UNUSED_PAD src0_sel:WORD_1 src1_sel:DWORD
	v_add_f16_sdwa v10, v76, v10 dst_sel:DWORD dst_unused:UNUSED_PAD src0_sel:WORD_1 src1_sel:DWORD
	v_add_f16_sdwa v10, v78, v10 dst_sel:DWORD dst_unused:UNUSED_PAD src0_sel:WORD_1 src1_sel:DWORD
	v_pk_fma_f16 v82, v33, s5, v49 op_sel:[0,0,1] op_sel_hi:[1,1,0]
	v_add_f16_sdwa v10, v80, v10 dst_sel:DWORD dst_unused:UNUSED_PAD src0_sel:WORD_1 src1_sel:DWORD
	s_movk_i32 s29, 0x3836
	s_movk_i32 s28, 0x3bb2
	;; [unrolled: 1-line block ×4, first 2 shown]
	v_add_f16_sdwa v10, v82, v10 dst_sel:DWORD dst_unused:UNUSED_PAD src0_sel:WORD_1 src1_sel:DWORD
	v_mul_lo_u16_e32 v49, 17, v47
	s_barrier
	s_and_saveexec_b64 s[4:5], vcc
	s_cbranch_execz .LBB0_7
; %bb.6:
	v_alignbit_b32 v83, v42, v42, 16
	v_alignbit_b32 v42, v0, v0, 16
	v_pk_add_f16 v1, v1, v42 op_sel:[0,1] op_sel_hi:[1,0]
	v_pk_add_f16 v1, v83, v1
	v_pk_add_f16 v1, v18, v1
	;; [unrolled: 1-line block ×3, first 2 shown]
	v_mul_f16_e32 v15, 0xb836, v17
	v_pk_add_f16 v1, v16, v1
	v_fma_f16 v16, v32, s20, v15
	v_mul_f16_e32 v18, 0x3b29, v22
	v_add_f16_sdwa v16, v16, v0 dst_sel:DWORD dst_unused:UNUSED_PAD src0_sel:DWORD src1_sel:WORD_1
	v_fma_f16 v83, v19, s14, v18
	v_add_f16_e32 v16, v83, v16
	v_mul_f16_e32 v83, 0xbbf7, v21
	v_fma_f16 v84, v36, s10, v83
	v_add_f16_e32 v16, v84, v16
	v_mul_f16_e32 v84, 0x3a62, v23
	v_fma_f16 v85, v37, s15, v84
	v_add_f16_e32 v16, v85, v16
	v_mul_f16_e32 v85, 0xb5c8, v25
	v_fma_f16 v86, v38, s8, v85
	v_add_f16_e32 v16, v86, v16
	v_mul_f16_e32 v86, 0xb1e1, v27
	v_fma_f16 v87, v39, s19, v86
	v_add_f16_e32 v16, v87, v16
	v_mul_f16_e32 v87, 0x3964, v30
	v_fma_f16 v88, v40, s9, v87
	v_add_f16_e32 v16, v88, v16
	v_mul_f16_e32 v88, 0xbbb2, v33
	v_fma_f16 v89, v41, s18, v88
	v_add_f16_e32 v16, v89, v16
	v_mul_f16_sdwa v89, v17, s21 dst_sel:DWORD dst_unused:UNUSED_PAD src0_sel:WORD_1 src1_sel:DWORD
	v_fma_f16 v90, v20, s20, -v89
	v_mul_f16_sdwa v91, v22, s22 dst_sel:DWORD dst_unused:UNUSED_PAD src0_sel:WORD_1 src1_sel:DWORD
	v_add_f16_e32 v90, v90, v0
	v_fma_f16 v92, v29, s14, -v91
	v_add_f16_e32 v90, v92, v90
	v_mul_f16_sdwa v92, v21, s25 dst_sel:DWORD dst_unused:UNUSED_PAD src0_sel:WORD_1 src1_sel:DWORD
	v_fma_f16 v93, v24, s10, -v92
	s_movk_i32 s33, 0x3a62
	v_add_f16_e32 v90, v93, v90
	v_mul_f16_sdwa v93, v23, s33 dst_sel:DWORD dst_unused:UNUSED_PAD src0_sel:WORD_1 src1_sel:DWORD
	v_fma_f16 v94, v26, s15, -v93
	v_add_f16_e32 v90, v94, v90
	v_mul_f16_sdwa v94, v25, s24 dst_sel:DWORD dst_unused:UNUSED_PAD src0_sel:WORD_1 src1_sel:DWORD
	v_fma_f16 v95, v28, s8, -v94
	;; [unrolled: 3-line block ×3, first 2 shown]
	s_movk_i32 s30, 0x3964
	v_add_f16_e32 v90, v96, v90
	v_mul_f16_sdwa v96, v30, s30 dst_sel:DWORD dst_unused:UNUSED_PAD src0_sel:WORD_1 src1_sel:DWORD
	v_fma_f16 v97, v34, s9, -v96
	v_add_f16_e32 v90, v97, v90
	v_mul_f16_sdwa v97, v33, s16 dst_sel:DWORD dst_unused:UNUSED_PAD src0_sel:WORD_1 src1_sel:DWORD
	v_fma_f16 v98, v35, s18, -v97
	v_add_f16_e32 v90, v98, v90
	v_mul_f16_e32 v98, 0xba62, v17
	v_fma_f16 v99, v32, s15, v98
	v_mul_f16_e32 v100, 0x3bb2, v22
	v_add_f16_sdwa v99, v99, v0 dst_sel:DWORD dst_unused:UNUSED_PAD src0_sel:DWORD src1_sel:WORD_1
	v_fma_f16 v101, v19, s18, v100
	v_add_f16_e32 v99, v101, v99
	v_mul_f16_e32 v101, 0xb5c8, v21
	v_fma_f16 v102, v36, s8, v101
	v_add_f16_e32 v99, v102, v99
	v_mul_f16_e32 v102, 0xb836, v23
	;; [unrolled: 3-line block ×6, first 2 shown]
	v_fma_f16 v107, v41, s14, v106
	v_add_f16_e32 v99, v107, v99
	v_mul_f16_sdwa v107, v17, s11 dst_sel:DWORD dst_unused:UNUSED_PAD src0_sel:WORD_1 src1_sel:DWORD
	v_fma_f16 v108, v20, s15, -v107
	v_mul_f16_sdwa v109, v22, s28 dst_sel:DWORD dst_unused:UNUSED_PAD src0_sel:WORD_1 src1_sel:DWORD
	v_add_f16_e32 v108, v108, v0
	v_fma_f16 v110, v29, s18, -v109
	v_add_f16_e32 v108, v110, v108
	v_mul_f16_sdwa v110, v21, s24 dst_sel:DWORD dst_unused:UNUSED_PAD src0_sel:WORD_1 src1_sel:DWORD
	v_fma_f16 v111, v24, s8, -v110
	v_add_f16_e32 v108, v111, v108
	v_mul_f16_sdwa v111, v23, s21 dst_sel:DWORD dst_unused:UNUSED_PAD src0_sel:WORD_1 src1_sel:DWORD
	v_fma_f16 v112, v26, s20, -v111
	s_movk_i32 s31, 0x3bf7
	v_add_f16_e32 v108, v112, v108
	v_mul_f16_sdwa v112, v25, s31 dst_sel:DWORD dst_unused:UNUSED_PAD src0_sel:WORD_1 src1_sel:DWORD
	v_fma_f16 v113, v28, s10, -v112
	v_add_f16_e32 v108, v113, v108
	v_mul_f16_sdwa v113, v27, s27 dst_sel:DWORD dst_unused:UNUSED_PAD src0_sel:WORD_1 src1_sel:DWORD
	v_fma_f16 v114, v31, s9, -v113
	;; [unrolled: 3-line block ×4, first 2 shown]
	v_add_f16_e32 v108, v116, v108
	v_mul_f16_e32 v116, 0xbbb2, v17
	v_fma_f16 v117, v32, s18, v116
	v_mul_f16_e32 v118, 0x3836, v22
	v_add_f16_sdwa v117, v117, v0 dst_sel:DWORD dst_unused:UNUSED_PAD src0_sel:DWORD src1_sel:WORD_1
	v_fma_f16 v119, v19, s20, v118
	v_add_f16_e32 v117, v119, v117
	v_mul_f16_e32 v119, 0x3964, v21
	v_fma_f16 v120, v36, s9, v119
	v_add_f16_e32 v117, v120, v117
	v_mul_f16_e32 v120, 0xbb29, v23
	;; [unrolled: 3-line block ×6, first 2 shown]
	v_fma_f16 v125, v41, s15, v124
	v_add_f16_e32 v117, v125, v117
	v_mul_f16_sdwa v125, v17, s16 dst_sel:DWORD dst_unused:UNUSED_PAD src0_sel:WORD_1 src1_sel:DWORD
	v_fma_f16 v126, v20, s18, -v125
	v_mul_f16_sdwa v127, v22, s29 dst_sel:DWORD dst_unused:UNUSED_PAD src0_sel:WORD_1 src1_sel:DWORD
	v_add_f16_e32 v126, v126, v0
	v_fma_f16 v128, v29, s20, -v127
	v_add_f16_e32 v126, v128, v126
	v_mul_f16_sdwa v128, v21, s30 dst_sel:DWORD dst_unused:UNUSED_PAD src0_sel:WORD_1 src1_sel:DWORD
	v_fma_f16 v129, v24, s9, -v128
	v_add_f16_e32 v126, v129, v126
	v_mul_f16_sdwa v129, v23, s26 dst_sel:DWORD dst_unused:UNUSED_PAD src0_sel:WORD_1 src1_sel:DWORD
	;; [unrolled: 3-line block ×6, first 2 shown]
	v_fma_f16 v134, v35, s15, -v133
	v_add_f16_e32 v126, v134, v126
	v_mul_f16_e32 v134, 0xbbf7, v17
	v_fma_f16 v135, v32, s10, v134
	v_mul_f16_e32 v136, 0xb1e1, v22
	v_add_f16_sdwa v135, v135, v0 dst_sel:DWORD dst_unused:UNUSED_PAD src0_sel:DWORD src1_sel:WORD_1
	v_fma_f16 v137, v19, s19, v136
	v_add_f16_e32 v135, v137, v135
	v_mul_f16_e32 v137, 0x3bb2, v21
	v_fma_f16 v138, v36, s18, v137
	v_add_f16_e32 v135, v138, v135
	v_mul_f16_e32 v138, 0x35c8, v23
	;; [unrolled: 3-line block ×6, first 2 shown]
	v_fma_f16 v143, v41, s9, v142
	v_add_f16_e32 v135, v143, v135
	v_mul_f16_sdwa v143, v17, s25 dst_sel:DWORD dst_unused:UNUSED_PAD src0_sel:WORD_1 src1_sel:DWORD
	v_fma_f16 v144, v20, s10, -v143
	v_mul_f16_sdwa v145, v22, s17 dst_sel:DWORD dst_unused:UNUSED_PAD src0_sel:WORD_1 src1_sel:DWORD
	v_add_f16_e32 v144, v144, v0
	v_fma_f16 v146, v29, s19, -v145
	v_add_f16_e32 v144, v146, v144
	v_mul_f16_sdwa v146, v21, s28 dst_sel:DWORD dst_unused:UNUSED_PAD src0_sel:WORD_1 src1_sel:DWORD
	v_fma_f16 v147, v24, s18, -v146
	v_add_f16_e32 v144, v147, v144
	v_mul_f16_sdwa v147, v23, s23 dst_sel:DWORD dst_unused:UNUSED_PAD src0_sel:WORD_1 src1_sel:DWORD
	;; [unrolled: 3-line block ×6, first 2 shown]
	v_fma_f16 v152, v35, s9, -v151
	v_add_f16_e32 v144, v152, v144
	v_mul_f16_e32 v152, 0xbb29, v17
	v_fma_f16 v153, v32, s14, v152
	v_mul_f16_e32 v154, 0xba62, v22
	v_add_f16_sdwa v153, v153, v0 dst_sel:DWORD dst_unused:UNUSED_PAD src0_sel:DWORD src1_sel:WORD_1
	v_fma_f16 v155, v19, s15, v154
	v_add_f16_e32 v153, v155, v153
	v_mul_f16_e32 v155, 0x31e1, v21
	v_fma_f16 v156, v36, s19, v155
	v_add_f16_e32 v153, v156, v153
	v_mul_f16_e32 v156, 0x3bb2, v23
	;; [unrolled: 3-line block ×6, first 2 shown]
	v_fma_f16 v161, v41, s20, v160
	v_add_f16_e32 v153, v161, v153
	v_mul_f16_sdwa v161, v17, s26 dst_sel:DWORD dst_unused:UNUSED_PAD src0_sel:WORD_1 src1_sel:DWORD
	v_fma_f16 v162, v20, s14, -v161
	v_mul_f16_sdwa v163, v22, s11 dst_sel:DWORD dst_unused:UNUSED_PAD src0_sel:WORD_1 src1_sel:DWORD
	v_add_f16_e32 v162, v162, v0
	v_fma_f16 v164, v29, s15, -v163
	s_movk_i32 s26, 0x31e1
	v_add_f16_e32 v162, v164, v162
	v_mul_f16_sdwa v164, v21, s26 dst_sel:DWORD dst_unused:UNUSED_PAD src0_sel:WORD_1 src1_sel:DWORD
	v_fma_f16 v165, v24, s19, -v164
	v_add_f16_e32 v162, v165, v162
	v_mul_f16_sdwa v165, v23, s28 dst_sel:DWORD dst_unused:UNUSED_PAD src0_sel:WORD_1 src1_sel:DWORD
	v_fma_f16 v166, v26, s18, -v165
	;; [unrolled: 3-line block ×6, first 2 shown]
	v_add_f16_e32 v162, v170, v162
	v_mul_f16_e32 v170, 0x39e9, v32
	v_add_f16_e32 v55, v55, v170
	v_mul_f16_e32 v170, 0x2de8, v19
	v_add_f16_e32 v57, v57, v170
	v_add_f16_sdwa v55, v55, v0 dst_sel:DWORD dst_unused:UNUSED_PAD src0_sel:DWORD src1_sel:WORD_1
	v_add_f16_e32 v55, v57, v55
	v_mul_f16_e32 v57, 0xb8d2, v36
	v_add_f16_e32 v57, v59, v57
	v_add_f16_e32 v55, v57, v55
	v_mul_f16_e32 v57, 0xbbdd, v37
	v_add_f16_e32 v57, v61, v57
	;; [unrolled: 3-line block ×6, first 2 shown]
	s_mov_b32 s24, 0xffff
	v_add_f16_e32 v55, v57, v55
	v_bfi_b32 v57, s24, v68, v67
	v_mul_f16_e32 v68, 0x3b76, v20
	v_sub_f16_e32 v43, v68, v43
	v_mul_f16_e32 v68, 0x39e9, v29
	v_sub_f16_e32 v44, v68, v44
	v_add_f16_e32 v43, v43, v0
	v_add_f16_e32 v43, v44, v43
	v_mul_f16_e32 v44, 0x3722, v24
	v_sub_f16_e32 v44, v44, v53
	v_add_f16_e32 v43, v44, v43
	v_mul_f16_e32 v44, 0x2de8, v26
	v_sub_f16_e32 v44, v44, v54
	v_fma_f16 v15, v32, s20, -v15
	v_add_f16_e32 v43, v44, v43
	v_mul_f16_e32 v44, 0xb461, v28
	v_add_f16_sdwa v15, v15, v0 dst_sel:DWORD dst_unused:UNUSED_PAD src0_sel:DWORD src1_sel:WORD_1
	v_fma_f16 v18, v19, s14, -v18
	v_sub_f16_e32 v44, v44, v56
	v_add_f16_e32 v15, v18, v15
	v_fma_f16 v18, v36, s10, -v83
	v_add_f16_e32 v43, v44, v43
	v_mul_f16_e32 v44, 0xb8d2, v31
	v_add_f16_e32 v15, v18, v15
	v_fma_f16 v18, v37, s15, -v84
	v_sub_f16_e32 v44, v44, v58
	v_add_f16_e32 v15, v18, v15
	v_fma_f16 v18, v38, s8, -v85
	v_add_f16_e32 v43, v44, v43
	v_mul_f16_e32 v44, 0xbacd, v34
	v_add_f16_e32 v15, v18, v15
	;; [unrolled: 7-line block ×3, first 2 shown]
	v_fma_f16 v18, v41, s18, -v88
	v_sub_f16_e32 v44, v44, v62
	v_add_f16_e32 v15, v18, v15
	v_fma_f16 v18, v20, s20, v89
	v_add_f16_e32 v43, v44, v43
	v_add_f16_e32 v18, v18, v0
	v_fma_f16 v44, v29, s14, v91
	v_add_f16_e32 v18, v44, v18
	v_fma_f16 v44, v24, s10, v92
	v_add_f16_e32 v18, v44, v18
	v_fma_f16 v44, v26, s15, v93
	v_add_f16_e32 v18, v44, v18
	v_fma_f16 v44, v28, s8, v94
	v_add_f16_e32 v18, v44, v18
	v_fma_f16 v44, v31, s19, v95
	v_add_f16_e32 v18, v44, v18
	v_fma_f16 v44, v34, s9, v96
	v_add_f16_e32 v18, v44, v18
	v_fma_f16 v44, v35, s18, v97
	v_add_f16_e32 v18, v44, v18
	v_fma_f16 v44, v32, s15, -v98
	v_add_f16_sdwa v44, v44, v0 dst_sel:DWORD dst_unused:UNUSED_PAD src0_sel:DWORD src1_sel:WORD_1
	v_fma_f16 v53, v19, s18, -v100
	v_add_f16_e32 v44, v53, v44
	v_fma_f16 v53, v36, s8, -v101
	v_add_f16_e32 v44, v53, v44
	v_fma_f16 v53, v37, s20, -v102
	v_add_f16_e32 v44, v53, v44
	v_fma_f16 v53, v38, s10, -v103
	v_add_f16_e32 v44, v53, v44
	v_fma_f16 v53, v39, s9, -v104
	v_add_f16_e32 v44, v53, v44
	v_fma_f16 v53, v40, s19, -v105
	v_add_f16_e32 v44, v53, v44
	v_fma_f16 v53, v41, s14, -v106
	v_add_f16_e32 v44, v53, v44
	v_fma_f16 v53, v20, s15, v107
	v_add_f16_e32 v53, v53, v0
	v_fma_f16 v54, v29, s18, v109
	v_add_f16_e32 v53, v54, v53
	v_fma_f16 v54, v24, s8, v110
	v_add_f16_e32 v53, v54, v53
	v_fma_f16 v54, v26, s20, v111
	v_add_f16_e32 v53, v54, v53
	v_fma_f16 v54, v28, s10, v112
	v_add_f16_e32 v53, v54, v53
	v_fma_f16 v54, v31, s9, v113
	v_add_f16_e32 v53, v54, v53
	v_fma_f16 v54, v34, s19, v114
	v_add_f16_e32 v53, v54, v53
	v_fma_f16 v54, v35, s14, v115
	v_add_f16_e32 v53, v54, v53
	v_fma_f16 v54, v32, s18, -v116
	v_add_f16_sdwa v54, v54, v0 dst_sel:DWORD dst_unused:UNUSED_PAD src0_sel:DWORD src1_sel:WORD_1
	v_fma_f16 v56, v19, s20, -v118
	v_add_f16_e32 v54, v56, v54
	v_fma_f16 v56, v36, s9, -v119
	v_add_f16_e32 v54, v56, v54
	v_fma_f16 v56, v37, s14, -v120
	v_add_f16_e32 v54, v56, v54
	v_fma_f16 v56, v38, s19, -v121
	v_add_f16_e32 v54, v56, v54
	v_fma_f16 v56, v39, s10, -v122
	v_add_f16_e32 v54, v56, v54
	v_fma_f16 v56, v40, s8, -v123
	v_add_f16_e32 v54, v56, v54
	v_fma_f16 v56, v41, s15, -v124
	v_add_f16_e32 v54, v56, v54
	v_fma_f16 v56, v20, s18, v125
	;; [unrolled: 32-line block ×3, first 2 shown]
	v_add_f16_e32 v60, v60, v0
	v_fma_f16 v62, v29, s19, v145
	v_add_f16_e32 v60, v62, v60
	v_fma_f16 v62, v24, s18, v146
	v_add_f16_e32 v60, v62, v60
	v_fma_f16 v62, v26, s8, v147
	v_add_f16_e32 v60, v62, v60
	v_fma_f16 v62, v28, s14, v148
	v_add_f16_e32 v60, v62, v60
	v_fma_f16 v62, v31, s20, v149
	v_add_f16_e32 v60, v62, v60
	v_fma_f16 v62, v34, s15, v150
	v_add_f16_e32 v60, v62, v60
	v_fma_f16 v62, v35, s9, v151
	v_fma_f16 v32, v32, s14, -v152
	v_pk_add_f16 v1, v13, v1
	v_add_f16_e32 v60, v62, v60
	v_add_f16_sdwa v32, v32, v0 dst_sel:DWORD dst_unused:UNUSED_PAD src0_sel:DWORD src1_sel:WORD_1
	v_fma_f16 v62, v19, s15, -v154
	v_pk_add_f16 v1, v14, v1
	v_add_f16_e32 v32, v62, v32
	v_fma_f16 v36, v36, s19, -v155
	v_pk_add_f16 v1, v11, v1
	v_add_f16_e32 v32, v36, v32
	;; [unrolled: 3-line block ×6, first 2 shown]
	v_fma_f16 v36, v41, s20, -v160
	v_pk_add_f16 v1, v7, v1
	v_bfi_b32 v59, s24, v70, v69
	v_add_f16_e32 v32, v36, v32
	v_fma_f16 v36, v20, s14, v161
	v_pk_add_f16 v1, v2, v1
	v_pk_add_f16 v2, v57, v42
	v_bfi_b32 v61, s24, v72, v71
	v_add_f16_e32 v0, v36, v0
	v_fma_f16 v29, v29, s15, v163
	v_pk_add_f16 v2, v59, v2
	v_bfi_b32 v63, s24, v74, v73
	v_add_f16_e32 v0, v29, v0
	v_fma_f16 v29, v24, s19, v164
	;; [unrolled: 4-line block ×6, first 2 shown]
	v_pk_add_f16 v2, v66, v2
	v_add_f16_e32 v0, v29, v0
	v_fma_f16 v29, v35, s20, v169
	v_pk_add_f16 v2, v67, v2
	v_add_f16_e32 v0, v29, v0
	v_add_lshl_u32 v29, v46, v49, 2
	v_pk_add_f16 v1, v3, v1
	v_alignbit_b32 v3, v55, v2, 16
	v_pack_b32_f16 v2, v43, v2
	ds_write2_b32 v29, v2, v3 offset0:1 offset1:2
	v_pack_b32_f16 v2, v144, v135
	v_pack_b32_f16 v3, v162, v153
	ds_write2_b32 v29, v3, v2 offset0:3 offset1:4
	v_pack_b32_f16 v2, v108, v99
	v_pack_b32_f16 v3, v126, v117
	v_pk_add_f16 v1, v9, v1
	ds_write2_b32 v29, v3, v2 offset0:5 offset1:6
	v_pack_b32_f16 v2, v90, v16
	ds_write2_b32 v29, v1, v2 offset1:7
	v_pk_mul_f16 v1, v20, s19 op_sel_hi:[1,0]
	v_pk_fma_f16 v2, v17, s17, v1 op_sel:[0,0,1] op_sel_hi:[1,0,0] neg_lo:[1,0,0] neg_hi:[1,0,0]
	v_pk_mul_f16 v3, v22, s23 op_sel_hi:[1,0]
	v_pk_add_f16 v2, v2, v42
	v_pk_fma_f16 v4, v19, s8, v3 op_sel_hi:[1,0,1] neg_lo:[0,0,1] neg_hi:[0,0,1]
	v_pk_add_f16 v2, v4, v2
	v_pk_mul_f16 v4, v24, s20 op_sel_hi:[1,0]
	v_pk_fma_f16 v5, v21, s21, v4 op_sel:[0,0,1] op_sel_hi:[1,0,0] neg_lo:[1,0,0] neg_hi:[1,0,0]
	v_pk_add_f16 v2, v5, v2
	v_pk_mul_f16 v5, v26, s9 op_sel_hi:[1,0]
	v_pk_fma_f16 v6, v23, s30, v5 op_sel:[0,0,1] op_sel_hi:[1,0,0] neg_lo:[1,0,0] neg_hi:[1,0,0]
	v_pk_add_f16 v2, v6, v2
	v_pk_mul_f16 v6, v28, s15 op_sel_hi:[1,0]
	v_pk_fma_f16 v1, v17, s17, v1 op_sel:[0,0,1] op_sel_hi:[1,0,0]
	v_pk_fma_f16 v7, v25, s11, v6 op_sel:[0,0,1] op_sel_hi:[1,0,0] neg_lo:[1,0,0] neg_hi:[1,0,0]
	v_pk_add_f16 v1, v1, v42
	v_pk_fma_f16 v3, v19, s8, v3 op_sel_hi:[1,0,1]
	v_pk_add_f16 v2, v7, v2
	v_pk_mul_f16 v7, v31, s14 op_sel_hi:[1,0]
	v_pk_add_f16 v1, v3, v1
	v_pk_fma_f16 v3, v21, s21, v4 op_sel:[0,0,1] op_sel_hi:[1,0,0]
	v_pk_fma_f16 v9, v27, s22, v7 op_sel:[0,0,1] op_sel_hi:[1,0,0] neg_lo:[1,0,0] neg_hi:[1,0,0]
	v_pk_add_f16 v1, v3, v1
	v_pk_fma_f16 v3, v23, s30, v5 op_sel:[0,0,1] op_sel_hi:[1,0,0]
	v_pk_add_f16 v2, v9, v2
	v_pk_mul_f16 v9, v34, s18 op_sel_hi:[1,0]
	v_pk_add_f16 v1, v3, v1
	v_pk_fma_f16 v3, v25, s11, v6 op_sel:[0,0,1] op_sel_hi:[1,0,0]
	v_pk_fma_f16 v11, v30, s16, v9 op_sel:[0,0,1] op_sel_hi:[1,0,0] neg_lo:[1,0,0] neg_hi:[1,0,0]
	v_pk_add_f16 v1, v3, v1
	v_pk_fma_f16 v3, v27, s22, v7 op_sel:[0,0,1] op_sel_hi:[1,0,0]
	;; [unrolled: 7-line block ×3, first 2 shown]
	v_pk_add_f16 v2, v12, v2
	v_pk_add_f16 v1, v3, v1
	v_alignbit_b32 v3, v2, v1, 16
	v_alignbit_b32 v1, v1, v2, 16
	ds_write2_b32 v29, v1, v3 offset0:8 offset1:9
	v_pack_b32_f16 v1, v53, v44
	v_pack_b32_f16 v2, v18, v15
	ds_write2_b32 v29, v2, v1 offset0:10 offset1:11
	v_pack_b32_f16 v1, v60, v58
	v_pack_b32_f16 v2, v56, v54
	s_mov_b32 s8, 0x5040100
	ds_write2_b32 v29, v2, v1 offset0:12 offset1:13
	v_pack_b32_f16 v0, v0, v32
	v_perm_b32 v1, v51, v10, s8
	ds_write2_b32 v29, v0, v1 offset0:14 offset1:15
	v_perm_b32 v0, v52, v50, s8
	ds_write_b32 v29, v0 offset:64
.LBB0_7:
	s_or_b64 exec, exec, s[4:5]
	s_movk_i32 s4, 0xf1
	v_mul_lo_u16_sdwa v0, v47, s4 dst_sel:DWORD dst_unused:UNUSED_PAD src0_sel:BYTE_0 src1_sel:DWORD
	v_lshrrev_b16_e32 v26, 12, v0
	v_mul_lo_u16_e32 v0, 17, v26
	s_load_dwordx4 s[8:11], s[0:1], 0x0
	v_add_co_u32_e64 v9, s[0:1], 51, v47
	v_sub_u16_e32 v28, v47, v0
	v_lshlrev_b16_e32 v0, 1, v28
	v_mul_lo_u16_sdwa v1, v9, s4 dst_sel:DWORD dst_unused:UNUSED_PAD src0_sel:BYTE_0 src1_sel:DWORD
	v_and_b32_e32 v0, 0xfe, v0
	v_lshrrev_b16_e32 v30, 12, v1
	v_lshlrev_b32_e32 v0, 2, v0
	v_mul_lo_u16_e32 v1, 17, v30
	s_waitcnt lgkmcnt(0)
	s_barrier
	global_load_dwordx2 v[13:14], v0, s[2:3]
	v_sub_u16_e32 v36, v9, v1
	v_mov_b32_e32 v0, 3
	s_movk_i32 s0, 0x66
	v_lshlrev_b32_sdwa v1, v0, v36 dst_sel:DWORD dst_unused:UNUSED_PAD src0_sel:DWORD src1_sel:BYTE_0
	v_add_co_u32_e64 v25, s[0:1], s0, v47
	global_load_dwordx2 v[11:12], v1, s[2:3]
	v_mul_lo_u16_sdwa v1, v25, s4 dst_sel:DWORD dst_unused:UNUSED_PAD src0_sel:BYTE_0 src1_sel:DWORD
	v_lshrrev_b16_e32 v37, 12, v1
	v_mul_lo_u16_e32 v1, 17, v37
	s_movk_i32 s0, 0x99
	v_sub_u16_e32 v38, v25, v1
	v_lshlrev_b32_sdwa v1, v0, v38 dst_sel:DWORD dst_unused:UNUSED_PAD src0_sel:DWORD src1_sel:BYTE_0
	v_add_co_u32_e64 v27, s[0:1], s0, v47
	global_load_dwordx2 v[15:16], v1, s[2:3]
	v_mul_lo_u16_sdwa v1, v27, s4 dst_sel:DWORD dst_unused:UNUSED_PAD src0_sel:BYTE_0 src1_sel:DWORD
	v_lshrrev_b16_e32 v39, 12, v1
	v_mul_lo_u16_e32 v1, 17, v39
	s_movk_i32 s0, 0xcc
	v_sub_u16_e32 v40, v27, v1
	v_lshlrev_b32_sdwa v1, v0, v40 dst_sel:DWORD dst_unused:UNUSED_PAD src0_sel:DWORD src1_sel:BYTE_0
	v_add_co_u32_e64 v29, s[0:1], s0, v47
	global_load_dwordx2 v[17:18], v1, s[2:3]
	v_mul_lo_u16_sdwa v1, v29, s4 dst_sel:DWORD dst_unused:UNUSED_PAD src0_sel:BYTE_0 src1_sel:DWORD
	v_lshrrev_b16_e32 v41, 12, v1
	v_mul_lo_u16_e32 v1, 17, v41
	v_sub_u16_e32 v42, v29, v1
	v_lshlrev_b32_sdwa v0, v0, v42 dst_sel:DWORD dst_unused:UNUSED_PAD src0_sel:DWORD src1_sel:BYTE_0
	global_load_dwordx2 v[19:20], v0, s[2:3]
	v_add_lshl_u32 v53, v46, v47, 2
	ds_read2_b32 v[0:1], v53 offset1:51
	ds_read2_b32 v[2:3], v53 offset0:204 offset1:255
	v_add_u32_e32 v33, 0x600, v53
	v_add_u32_e32 v31, 0x400, v53
	ds_read2_b32 v[4:5], v53 offset0:102 offset1:153
	v_add_u32_e32 v32, 0x800, v53
	ds_read_b32 v43, v53 offset:2856
	ds_read2_b32 v[6:7], v33 offset0:126 offset1:177
	ds_read2_b32 v[21:22], v31 offset0:50 offset1:101
	;; [unrolled: 1-line block ×4, first 2 shown]
	s_waitcnt lgkmcnt(6)
	v_lshrrev_b32_e32 v54, 16, v3
	s_waitcnt lgkmcnt(3)
	v_lshrrev_b32_e32 v62, 16, v7
	;; [unrolled: 2-line block ×5, first 2 shown]
	v_lshrrev_b32_e32 v66, 16, v24
	v_lshrrev_b32_e32 v67, 16, v35
	;; [unrolled: 1-line block ×6, first 2 shown]
	s_movk_i32 s4, 0x3aee
	s_mov_b32 s5, 0xbaee
	v_lshrrev_b32_e32 v55, 16, v1
	v_lshrrev_b32_e32 v56, 16, v4
	;; [unrolled: 1-line block ×4, first 2 shown]
	v_mad_legacy_u16 v26, v26, 51, v28
	v_and_b32_e32 v26, 0xff, v26
	s_waitcnt vmcnt(0)
	s_barrier
	s_movk_i32 s0, 0xa1
	s_mov_b32 s15, 0xbb9c
	s_mov_b32 s16, 0xb8b4
	s_movk_i32 s14, 0x34f2
	v_lshlrev_b32_e32 v9, 3, v9
	v_mul_f16_sdwa v68, v54, v13 dst_sel:DWORD dst_unused:UNUSED_PAD src0_sel:DWORD src1_sel:WORD_1
	v_mul_f16_sdwa v69, v3, v13 dst_sel:DWORD dst_unused:UNUSED_PAD src0_sel:DWORD src1_sel:WORD_1
	v_fma_f16 v3, v3, v13, -v68
	v_mul_f16_sdwa v70, v60, v14 dst_sel:DWORD dst_unused:UNUSED_PAD src0_sel:DWORD src1_sel:WORD_1
	v_mul_f16_sdwa v71, v6, v14 dst_sel:DWORD dst_unused:UNUSED_PAD src0_sel:DWORD src1_sel:WORD_1
	v_fma_f16 v6, v6, v14, -v70
	v_fma_f16 v54, v54, v13, v69
	v_mul_f16_sdwa v74, v62, v12 dst_sel:DWORD dst_unused:UNUSED_PAD src0_sel:DWORD src1_sel:WORD_1
	v_fma_f16 v68, v7, v12, -v74
	v_mul_f16_sdwa v7, v7, v12 dst_sel:DWORD dst_unused:UNUSED_PAD src0_sel:DWORD src1_sel:WORD_1
	v_fma_f16 v7, v62, v12, v7
	v_fma_f16 v60, v60, v14, v71
	v_add_f16_e32 v69, v3, v6
	v_mul_f16_sdwa v72, v61, v11 dst_sel:DWORD dst_unused:UNUSED_PAD src0_sel:DWORD src1_sel:WORD_1
	v_mul_f16_sdwa v73, v21, v11 dst_sel:DWORD dst_unused:UNUSED_PAD src0_sel:DWORD src1_sel:WORD_1
	v_fma_f16 v21, v21, v11, -v72
	v_mul_f16_sdwa v62, v63, v15 dst_sel:DWORD dst_unused:UNUSED_PAD src0_sel:DWORD src1_sel:WORD_1
	v_fma_f16 v62, v22, v15, -v62
	v_mul_f16_sdwa v22, v22, v15 dst_sel:DWORD dst_unused:UNUSED_PAD src0_sel:DWORD src1_sel:WORD_1
	v_fma_f16 v22, v63, v15, v22
	v_mul_f16_sdwa v63, v64, v16 dst_sel:DWORD dst_unused:UNUSED_PAD src0_sel:DWORD src1_sel:WORD_1
	v_fma_f16 v63, v23, v16, -v63
	v_mul_f16_sdwa v23, v23, v16 dst_sel:DWORD dst_unused:UNUSED_PAD src0_sel:DWORD src1_sel:WORD_1
	v_fma_f16 v23, v64, v16, v23
	v_fma_f16 v61, v61, v11, v73
	v_mul_f16_sdwa v64, v65, v17 dst_sel:DWORD dst_unused:UNUSED_PAD src0_sel:DWORD src1_sel:WORD_1
	v_fma_f16 v64, v34, v17, -v64
	v_mul_f16_sdwa v34, v34, v17 dst_sel:DWORD dst_unused:UNUSED_PAD src0_sel:DWORD src1_sel:WORD_1
	v_fma_f16 v34, v65, v17, v34
	v_mul_f16_sdwa v65, v66, v18 dst_sel:DWORD dst_unused:UNUSED_PAD src0_sel:DWORD src1_sel:WORD_1
	v_fma_f16 v65, v24, v18, -v65
	v_mul_f16_sdwa v24, v24, v18 dst_sel:DWORD dst_unused:UNUSED_PAD src0_sel:DWORD src1_sel:WORD_1
	;; [unrolled: 4-line block ×4, first 2 shown]
	v_fma_f16 v43, v59, v20, v43
	v_add_f16_e32 v59, v0, v3
	v_fma_f16 v0, v69, -0.5, v0
	v_sub_f16_e32 v69, v54, v60
	v_fma_f16 v70, v69, s4, v0
	v_fma_f16 v0, v69, s5, v0
	v_add_f16_e32 v69, v44, v54
	v_add_f16_e32 v54, v54, v60
	v_fma_f16 v44, v54, -0.5, v44
	v_sub_f16_e32 v3, v3, v6
	v_add_f16_e32 v54, v21, v68
	v_add_f16_e32 v59, v59, v6
	v_fma_f16 v6, v3, s5, v44
	v_fma_f16 v3, v3, s4, v44
	v_add_f16_e32 v44, v1, v21
	v_fma_f16 v1, v54, -0.5, v1
	v_sub_f16_e32 v54, v61, v7
	v_add_f16_e32 v69, v69, v60
	v_fma_f16 v60, v54, s4, v1
	v_fma_f16 v1, v54, s5, v1
	v_add_f16_e32 v54, v55, v61
	v_add_f16_e32 v54, v54, v7
	v_add_f16_e32 v7, v61, v7
	v_fma_f16 v7, v7, -0.5, v55
	v_sub_f16_e32 v21, v21, v68
	v_add_f16_e32 v55, v62, v63
	v_fma_f16 v61, v21, s5, v7
	v_fma_f16 v7, v21, s4, v7
	v_add_f16_e32 v21, v4, v62
	v_fma_f16 v4, v55, -0.5, v4
	v_sub_f16_e32 v55, v22, v23
	v_add_f16_e32 v44, v44, v68
	v_fma_f16 v68, v55, s4, v4
	v_fma_f16 v4, v55, s5, v4
	v_add_f16_e32 v55, v56, v22
	v_add_f16_e32 v22, v22, v23
	v_add_f16_e32 v71, v55, v23
	v_fma_f16 v22, v22, -0.5, v56
	v_sub_f16_e32 v23, v62, v63
	;; [unrolled: 14-line block ×3, first 2 shown]
	v_add_f16_e32 v55, v66, v67
	v_fma_f16 v64, v34, s5, v24
	v_fma_f16 v24, v34, s4, v24
	v_add_f16_e32 v34, v2, v66
	v_fma_f16 v2, v55, -0.5, v2
	v_sub_f16_e32 v55, v35, v43
	v_add_f16_e32 v23, v23, v65
	v_fma_f16 v65, v55, s4, v2
	v_fma_f16 v2, v55, s5, v2
	v_add_f16_e32 v55, v58, v35
	v_add_f16_e32 v73, v55, v43
	v_add_lshl_u32 v55, v46, v26, 2
	v_pack_b32_f16 v0, v0, v3
	ds_write_b32 v55, v0 offset:136
	v_mul_u32_u24_e32 v0, 51, v30
	v_add_u32_sdwa v0, v0, v36 dst_sel:DWORD dst_unused:UNUSED_PAD src0_sel:DWORD src1_sel:BYTE_0
	v_pack_b32_f16 v26, v59, v69
	v_pack_b32_f16 v6, v70, v6
	v_add_lshl_u32 v56, v46, v0, 2
	v_pack_b32_f16 v0, v44, v54
	v_pack_b32_f16 v3, v60, v61
	ds_write2_b32 v55, v26, v6 offset1:17
	ds_write2_b32 v56, v0, v3 offset1:17
	v_pack_b32_f16 v0, v1, v7
	ds_write_b32 v56, v0 offset:136
	v_mul_u32_u24_e32 v0, 51, v37
	v_add_u32_sdwa v0, v0, v38 dst_sel:DWORD dst_unused:UNUSED_PAD src0_sel:DWORD src1_sel:BYTE_0
	v_add_lshl_u32 v57, v46, v0, 2
	v_pack_b32_f16 v0, v21, v71
	v_pack_b32_f16 v1, v68, v62
	ds_write2_b32 v57, v0, v1 offset1:17
	v_pack_b32_f16 v0, v4, v22
	ds_write_b32 v57, v0 offset:136
	v_mul_u32_u24_e32 v0, 51, v39
	v_add_f16_e32 v35, v35, v43
	v_add_u32_sdwa v0, v0, v40 dst_sel:DWORD dst_unused:UNUSED_PAD src0_sel:DWORD src1_sel:BYTE_0
	v_fma_f16 v35, v35, -0.5, v58
	v_add_lshl_u32 v58, v46, v0, 2
	v_pack_b32_f16 v0, v23, v72
	v_pack_b32_f16 v1, v63, v64
	ds_write2_b32 v58, v0, v1 offset1:17
	v_pack_b32_f16 v0, v5, v24
	v_sub_f16_e32 v43, v66, v67
	ds_write_b32 v58, v0 offset:136
	v_mul_u32_u24_e32 v0, 51, v41
	v_add_f16_e32 v34, v34, v67
	v_fma_f16 v66, v43, s5, v35
	v_add_u32_sdwa v0, v0, v42 dst_sel:DWORD dst_unused:UNUSED_PAD src0_sel:DWORD src1_sel:BYTE_0
	v_fma_f16 v35, v43, s4, v35
	v_add_lshl_u32 v59, v46, v0, 2
	v_pack_b32_f16 v0, v34, v73
	v_pack_b32_f16 v1, v65, v66
	ds_write2_b32 v59, v0, v1 offset1:17
	v_pack_b32_f16 v0, v2, v35
	v_lshlrev_b32_e32 v26, 4, v47
	ds_write_b32 v59, v0 offset:136
	s_waitcnt lgkmcnt(0)
	s_barrier
	global_load_dwordx4 v[0:3], v26, s[2:3] offset:136
	v_mul_lo_u16_sdwa v4, v25, s0 dst_sel:DWORD dst_unused:UNUSED_PAD src0_sel:BYTE_0 src1_sel:DWORD
	v_lshrrev_b16_e32 v4, 13, v4
	v_mul_lo_u16_e32 v4, 51, v4
	v_sub_u16_e32 v4, v25, v4
	v_and_b32_e32 v28, 0xff, v4
	v_lshlrev_b32_e32 v4, 4, v28
	global_load_dwordx4 v[4:7], v4, s[2:3] offset:136
	ds_read2_b32 v[21:22], v53 offset1:51
	ds_read2_b32 v[23:24], v53 offset0:102 offset1:153
	ds_read2_b32 v[34:35], v31 offset0:50 offset1:101
	;; [unrolled: 1-line block ×5, first 2 shown]
	s_waitcnt lgkmcnt(4)
	v_lshrrev_b32_e32 v44, 16, v24
	s_waitcnt lgkmcnt(3)
	v_lshrrev_b32_e32 v54, 16, v34
	;; [unrolled: 2-line block ×4, first 2 shown]
	ds_read2_b32 v[42:43], v33 offset0:126 offset1:177
	s_waitcnt lgkmcnt(1)
	v_lshrrev_b32_e32 v63, 16, v40
	v_lshrrev_b32_e32 v64, 16, v35
	;; [unrolled: 1-line block ×4, first 2 shown]
	s_waitcnt lgkmcnt(0)
	v_lshrrev_b32_e32 v65, 16, v42
	ds_read_b32 v67, v53 offset:2856
	v_lshrrev_b32_e32 v70, 16, v36
	v_lshrrev_b32_e32 v71, 16, v43
	v_mov_b32_e32 v73, s3
	v_add_co_u32_e64 v26, s[0:1], s2, v26
	v_addc_co_u32_e64 v73, s[0:1], 0, v73, s[0:1]
	s_waitcnt lgkmcnt(0)
	v_lshrrev_b32_e32 v72, 16, v67
	s_movk_i32 s0, 0x3b9c
	s_movk_i32 s1, 0x38b4
	v_lshrrev_b32_e32 v30, 16, v21
	v_lshrrev_b32_e32 v62, 16, v22
	v_lshrrev_b32_e32 v68, 16, v23
	s_waitcnt vmcnt(0)
	s_barrier
	v_mul_f16_sdwa v74, v44, v0 dst_sel:DWORD dst_unused:UNUSED_PAD src0_sel:DWORD src1_sel:WORD_1
	v_fma_f16 v74, v24, v0, -v74
	v_mul_f16_sdwa v24, v24, v0 dst_sel:DWORD dst_unused:UNUSED_PAD src0_sel:DWORD src1_sel:WORD_1
	v_fma_f16 v24, v44, v0, v24
	v_mul_f16_sdwa v44, v54, v1 dst_sel:DWORD dst_unused:UNUSED_PAD src0_sel:DWORD src1_sel:WORD_1
	v_fma_f16 v44, v34, v1, -v44
	v_mul_f16_sdwa v34, v34, v1 dst_sel:DWORD dst_unused:UNUSED_PAD src0_sel:DWORD src1_sel:WORD_1
	v_fma_f16 v34, v54, v1, v34
	;; [unrolled: 4-line block ×10, first 2 shown]
	v_mul_f16_sdwa v70, v71, v6 dst_sel:DWORD dst_unused:UNUSED_PAD src0_sel:DWORD src1_sel:WORD_1
	v_add_f16_e32 v75, v44, v54
	v_fma_f16 v70, v43, v6, -v70
	v_mul_f16_sdwa v43, v43, v6 dst_sel:DWORD dst_unused:UNUSED_PAD src0_sel:DWORD src1_sel:WORD_1
	v_fma_f16 v75, v75, -0.5, v21
	v_sub_f16_e32 v76, v24, v38
	v_fma_f16 v43, v71, v6, v43
	v_mul_f16_sdwa v71, v72, v7 dst_sel:DWORD dst_unused:UNUSED_PAD src0_sel:DWORD src1_sel:WORD_1
	v_fma_f16 v77, v76, s0, v75
	v_sub_f16_e32 v78, v34, v37
	v_sub_f16_e32 v79, v74, v44
	;; [unrolled: 1-line block ×3, first 2 shown]
	v_fma_f16 v75, v76, s15, v75
	v_fma_f16 v71, v67, v7, -v71
	v_mul_f16_sdwa v67, v67, v7 dst_sel:DWORD dst_unused:UNUSED_PAD src0_sel:DWORD src1_sel:WORD_1
	v_fma_f16 v77, v78, s1, v77
	v_add_f16_e32 v79, v79, v80
	v_fma_f16 v75, v78, s16, v75
	v_fma_f16 v67, v72, v7, v67
	v_add_f16_e32 v72, v21, v74
	v_fma_f16 v77, v79, s14, v77
	v_fma_f16 v75, v79, s14, v75
	v_add_f16_e32 v79, v74, v60
	v_add_f16_e32 v72, v72, v44
	v_fma_f16 v21, v79, -0.5, v21
	v_add_f16_e32 v72, v72, v54
	v_fma_f16 v79, v78, s15, v21
	v_fma_f16 v21, v78, s0, v21
	v_add_f16_e32 v78, v34, v37
	v_add_f16_e32 v72, v72, v60
	v_sub_f16_e32 v80, v44, v74
	v_sub_f16_e32 v81, v54, v60
	v_fma_f16 v78, v78, -0.5, v30
	v_sub_f16_e32 v60, v74, v60
	v_fma_f16 v79, v76, s1, v79
	v_add_f16_e32 v80, v80, v81
	v_fma_f16 v21, v76, s16, v21
	v_fma_f16 v74, v60, s15, v78
	v_sub_f16_e32 v44, v44, v54
	v_fma_f16 v79, v80, s14, v79
	v_fma_f16 v21, v80, s14, v21
	;; [unrolled: 1-line block ×3, first 2 shown]
	v_sub_f16_e32 v74, v24, v34
	v_sub_f16_e32 v80, v38, v37
	v_fma_f16 v78, v60, s0, v78
	v_add_f16_e32 v74, v74, v80
	v_fma_f16 v78, v44, s1, v78
	v_add_f16_e32 v76, v30, v24
	v_fma_f16 v54, v74, s14, v54
	v_fma_f16 v74, v74, s14, v78
	v_add_f16_e32 v78, v24, v38
	v_add_f16_e32 v76, v76, v34
	v_fma_f16 v30, v78, -0.5, v30
	v_add_f16_e32 v76, v76, v37
	v_fma_f16 v78, v44, s0, v30
	v_sub_f16_e32 v24, v34, v24
	v_sub_f16_e32 v34, v37, v38
	v_add_f16_e32 v37, v63, v64
	v_add_f16_e32 v76, v76, v38
	v_fma_f16 v78, v60, s16, v78
	v_add_f16_e32 v24, v24, v34
	v_fma_f16 v30, v44, s15, v30
	v_fma_f16 v37, v37, -0.5, v22
	v_sub_f16_e32 v38, v40, v39
	v_fma_f16 v34, v24, s14, v78
	v_fma_f16 v30, v60, s1, v30
	;; [unrolled: 1-line block ×3, first 2 shown]
	v_sub_f16_e32 v60, v35, v42
	v_sub_f16_e32 v78, v61, v63
	;; [unrolled: 1-line block ×3, first 2 shown]
	v_fma_f16 v37, v38, s15, v37
	v_fma_f16 v44, v60, s1, v44
	v_add_f16_e32 v78, v78, v80
	v_fma_f16 v37, v60, s16, v37
	v_fma_f16 v44, v78, s14, v44
	;; [unrolled: 1-line block ×3, first 2 shown]
	v_add_f16_e32 v78, v61, v65
	v_fma_f16 v24, v24, s14, v30
	v_add_f16_e32 v30, v22, v61
	v_fma_f16 v22, v78, -0.5, v22
	v_add_f16_e32 v30, v30, v63
	v_fma_f16 v78, v60, s15, v22
	v_fma_f16 v22, v60, s0, v22
	v_add_f16_e32 v60, v35, v42
	v_add_f16_e32 v30, v30, v64
	v_sub_f16_e32 v80, v63, v61
	v_sub_f16_e32 v81, v64, v65
	v_fma_f16 v60, v60, -0.5, v62
	v_sub_f16_e32 v61, v61, v65
	v_add_f16_e32 v30, v30, v65
	v_fma_f16 v78, v38, s1, v78
	v_add_f16_e32 v80, v80, v81
	v_fma_f16 v22, v38, s16, v22
	v_fma_f16 v65, v61, s15, v60
	v_sub_f16_e32 v63, v63, v64
	v_fma_f16 v78, v80, s14, v78
	v_fma_f16 v22, v80, s14, v22
	;; [unrolled: 1-line block ×3, first 2 shown]
	v_sub_f16_e32 v65, v40, v35
	v_sub_f16_e32 v80, v39, v42
	v_fma_f16 v60, v61, s0, v60
	v_add_f16_e32 v38, v62, v40
	v_add_f16_e32 v65, v65, v80
	v_fma_f16 v60, v63, s1, v60
	v_add_f16_e32 v38, v38, v35
	v_fma_f16 v64, v65, s14, v64
	v_fma_f16 v60, v65, s14, v60
	v_add_f16_e32 v65, v40, v39
	v_add_f16_e32 v38, v38, v42
	v_fma_f16 v62, v65, -0.5, v62
	v_add_f16_e32 v38, v38, v39
	v_fma_f16 v65, v63, s0, v62
	v_sub_f16_e32 v35, v35, v40
	v_sub_f16_e32 v39, v42, v39
	v_fma_f16 v40, v63, s15, v62
	v_add_f16_e32 v42, v69, v70
	v_fma_f16 v65, v61, s16, v65
	v_add_f16_e32 v35, v35, v39
	v_fma_f16 v40, v61, s1, v40
	v_fma_f16 v42, v42, -0.5, v23
	v_sub_f16_e32 v61, v41, v67
	v_fma_f16 v39, v35, s14, v65
	v_fma_f16 v62, v61, s0, v42
	v_sub_f16_e32 v63, v36, v43
	v_sub_f16_e32 v65, v66, v69
	;; [unrolled: 1-line block ×3, first 2 shown]
	v_fma_f16 v42, v61, s15, v42
	v_fma_f16 v62, v63, s1, v62
	v_add_f16_e32 v65, v65, v80
	v_fma_f16 v42, v63, s16, v42
	v_fma_f16 v62, v65, s14, v62
	;; [unrolled: 1-line block ×3, first 2 shown]
	v_add_f16_e32 v65, v66, v71
	v_fma_f16 v35, v35, s14, v40
	v_add_f16_e32 v40, v23, v66
	v_fma_f16 v23, v65, -0.5, v23
	v_add_f16_e32 v40, v40, v69
	v_fma_f16 v65, v63, s15, v23
	v_fma_f16 v23, v63, s0, v23
	v_add_f16_e32 v63, v36, v43
	v_add_f16_e32 v40, v40, v70
	v_sub_f16_e32 v80, v69, v66
	v_sub_f16_e32 v81, v70, v71
	v_fma_f16 v63, v63, -0.5, v68
	v_sub_f16_e32 v66, v66, v71
	v_add_f16_e32 v40, v40, v71
	v_fma_f16 v65, v61, s1, v65
	v_add_f16_e32 v80, v80, v81
	v_fma_f16 v23, v61, s16, v23
	v_fma_f16 v71, v66, s15, v63
	v_sub_f16_e32 v69, v69, v70
	v_fma_f16 v65, v80, s14, v65
	v_fma_f16 v23, v80, s14, v23
	;; [unrolled: 1-line block ×3, first 2 shown]
	v_sub_f16_e32 v71, v41, v36
	v_sub_f16_e32 v80, v67, v43
	v_fma_f16 v63, v66, s0, v63
	v_add_f16_e32 v71, v71, v80
	v_fma_f16 v63, v69, s1, v63
	v_add_f16_e32 v61, v68, v41
	v_fma_f16 v70, v71, s14, v70
	v_fma_f16 v63, v71, s14, v63
	v_add_f16_e32 v71, v41, v67
	v_pack_b32_f16 v34, v79, v34
	v_pack_b32_f16 v21, v21, v24
	v_add_f16_e32 v61, v61, v36
	v_fma_f16 v68, v71, -0.5, v68
	ds_write2_b32 v53, v34, v21 offset0:102 offset1:153
	v_pack_b32_f16 v21, v75, v74
	v_pack_b32_f16 v24, v30, v38
	v_add_f16_e32 v61, v61, v43
	v_fma_f16 v71, v69, s0, v68
	v_sub_f16_e32 v36, v36, v41
	v_sub_f16_e32 v41, v43, v67
	v_fma_f16 v43, v69, s15, v68
	ds_write2_b32 v53, v21, v24 offset0:204 offset1:255
	v_pack_b32_f16 v21, v44, v64
	v_pack_b32_f16 v24, v78, v39
	v_add_f16_e32 v61, v61, v67
	v_fma_f16 v71, v66, s16, v71
	v_add_f16_e32 v36, v36, v41
	v_fma_f16 v43, v66, s1, v43
	ds_write2_b32 v31, v21, v24 offset0:50 offset1:101
	v_pack_b32_f16 v21, v22, v35
	v_pack_b32_f16 v22, v37, v60
	v_add_lshl_u32 v60, v46, v28, 2
	v_fma_f16 v41, v36, s14, v71
	v_fma_f16 v36, v36, s14, v43
	v_pack_b32_f16 v43, v72, v76
	v_pack_b32_f16 v54, v77, v54
	ds_write2_b32 v31, v21, v22 offset0:152 offset1:203
	v_pack_b32_f16 v21, v40, v61
	v_pack_b32_f16 v22, v62, v70
	v_add_u32_e32 v24, 0x600, v60
	ds_write2_b32 v53, v43, v54 offset1:51
	ds_write2_b32 v24, v21, v22 offset0:126 offset1:177
	v_pack_b32_f16 v21, v65, v41
	v_pack_b32_f16 v22, v23, v36
	v_add_u32_e32 v23, 0x800, v60
	ds_write2_b32 v23, v21, v22 offset0:100 offset1:151
	v_pack_b32_f16 v21, v42, v63
	ds_write_b32 v60, v21 offset:2856
	v_lshlrev_b32_e32 v21, 3, v47
	v_sub_co_u32_e64 v21, s[0:1], v26, v21
	v_subbrev_co_u32_e64 v22, s[0:1], 0, v73, s[0:1]
	s_waitcnt lgkmcnt(0)
	s_barrier
	global_load_dwordx2 v[21:22], v[21:22], off offset:952
	s_nop 0
	global_load_dwordx2 v[23:24], v9, s[2:3] offset:952
	v_lshlrev_b32_e32 v9, 3, v25
	global_load_dwordx2 v[25:26], v9, s[2:3] offset:952
	v_lshlrev_b32_e32 v9, 3, v27
	;; [unrolled: 2-line block ×3, first 2 shown]
	global_load_dwordx2 v[29:30], v9, s[2:3] offset:952
	ds_read2_b32 v[34:35], v53 offset1:51
	ds_read2_b32 v[61:62], v53 offset0:204 offset1:255
	ds_read2_b32 v[36:37], v33 offset0:126 offset1:177
	;; [unrolled: 1-line block ×5, first 2 shown]
	s_waitcnt lgkmcnt(4)
	v_lshrrev_b32_e32 v44, 16, v62
	s_waitcnt lgkmcnt(3)
	v_lshrrev_b32_e32 v54, 16, v36
	;; [unrolled: 2-line block ×3, first 2 shown]
	v_lshrrev_b32_e32 v65, 16, v37
	v_lshrrev_b32_e32 v31, 16, v39
	s_waitcnt lgkmcnt(1)
	v_lshrrev_b32_e32 v66, 16, v32
	s_waitcnt lgkmcnt(0)
	v_lshrrev_b32_e32 v68, 16, v42
	ds_read_b32 v67, v53 offset:2856
	v_lshrrev_b32_e32 v69, 16, v33
	v_lshrrev_b32_e32 v70, 16, v43
	;; [unrolled: 1-line block ×3, first 2 shown]
	ds_read2_b32 v[40:41], v53 offset0:102 offset1:153
	s_waitcnt lgkmcnt(1)
	v_lshrrev_b32_e32 v71, 16, v67
	v_lshrrev_b32_e32 v63, 16, v35
	;; [unrolled: 1-line block ×3, first 2 shown]
	s_waitcnt lgkmcnt(0)
	v_lshrrev_b32_e32 v72, 16, v40
	v_lshrrev_b32_e32 v75, 16, v41
	s_waitcnt vmcnt(4)
	v_mul_f16_sdwa v73, v44, v21 dst_sel:DWORD dst_unused:UNUSED_PAD src0_sel:DWORD src1_sel:WORD_1
	v_fma_f16 v73, v62, v21, -v73
	v_mul_f16_sdwa v62, v62, v21 dst_sel:DWORD dst_unused:UNUSED_PAD src0_sel:DWORD src1_sel:WORD_1
	v_fma_f16 v44, v44, v21, v62
	v_mul_f16_sdwa v62, v54, v22 dst_sel:DWORD dst_unused:UNUSED_PAD src0_sel:DWORD src1_sel:WORD_1
	v_fma_f16 v62, v36, v22, -v62
	v_mul_f16_sdwa v36, v36, v22 dst_sel:DWORD dst_unused:UNUSED_PAD src0_sel:DWORD src1_sel:WORD_1
	v_fma_f16 v36, v54, v22, v36
	s_waitcnt vmcnt(3)
	v_mul_f16_sdwa v54, v64, v23 dst_sel:DWORD dst_unused:UNUSED_PAD src0_sel:DWORD src1_sel:WORD_1
	v_fma_f16 v54, v38, v23, -v54
	v_mul_f16_sdwa v38, v38, v23 dst_sel:DWORD dst_unused:UNUSED_PAD src0_sel:DWORD src1_sel:WORD_1
	v_fma_f16 v38, v64, v23, v38
	v_mul_f16_sdwa v64, v65, v24 dst_sel:DWORD dst_unused:UNUSED_PAD src0_sel:DWORD src1_sel:WORD_1
	v_fma_f16 v64, v37, v24, -v64
	v_mul_f16_sdwa v37, v37, v24 dst_sel:DWORD dst_unused:UNUSED_PAD src0_sel:DWORD src1_sel:WORD_1
	v_fma_f16 v37, v65, v24, v37
	;; [unrolled: 9-line block ×4, first 2 shown]
	s_waitcnt vmcnt(0)
	v_mul_f16_sdwa v31, v70, v29 dst_sel:DWORD dst_unused:UNUSED_PAD src0_sel:DWORD src1_sel:WORD_1
	v_fma_f16 v84, v43, v29, -v31
	v_mul_f16_sdwa v31, v43, v29 dst_sel:DWORD dst_unused:UNUSED_PAD src0_sel:DWORD src1_sel:WORD_1
	v_fma_f16 v85, v70, v29, v31
	v_mul_f16_sdwa v31, v71, v30 dst_sel:DWORD dst_unused:UNUSED_PAD src0_sel:DWORD src1_sel:WORD_1
	v_fma_f16 v86, v67, v30, -v31
	v_mul_f16_sdwa v31, v67, v30 dst_sel:DWORD dst_unused:UNUSED_PAD src0_sel:DWORD src1_sel:WORD_1
	v_add_f16_e32 v32, v73, v62
	v_fma_f16 v87, v71, v30, v31
	v_add_f16_e32 v31, v34, v73
	v_fma_f16 v33, v32, -0.5, v34
	v_sub_f16_e32 v34, v44, v36
	v_fma_f16 v32, v34, s4, v33
	v_fma_f16 v33, v34, s5, v33
	v_add_f16_e32 v34, v9, v44
	v_add_f16_e32 v65, v34, v36
	v_add_f16_e32 v34, v44, v36
	v_fma_f16 v9, v34, -0.5, v9
	v_sub_f16_e32 v34, v73, v62
	v_fma_f16 v66, v34, s5, v9
	v_fma_f16 v67, v34, s4, v9
	v_add_f16_e32 v9, v35, v54
	v_add_f16_e32 v34, v9, v64
	;; [unrolled: 7-line block ×9, first 2 shown]
	v_add_f16_e32 v54, v85, v87
	v_add_f16_e32 v31, v31, v62
	v_fma_f16 v54, v54, -0.5, v78
	v_sub_f16_e32 v61, v84, v86
	v_fma_f16 v78, v61, s5, v54
	v_fma_f16 v79, v61, s4, v54
	v_lshl_add_u32 v61, v47, 2, v48
	v_pack_b32_f16 v54, v31, v65
	v_pack_b32_f16 v64, v34, v68
	;; [unrolled: 1-line block ×3, first 2 shown]
	ds_write2_b32 v61, v54, v64 offset1:51
	v_pack_b32_f16 v54, v35, v69
	v_add_u32_e32 v64, 0x200, v61
	v_pack_b32_f16 v63, v33, v67
	ds_write2_b32 v64, v62, v54 offset0:127 offset1:178
	v_pack_b32_f16 v54, v36, v70
	v_add_u32_e32 v62, 0x600, v61
	ds_write2_b32 v62, v63, v54 offset0:126 offset1:177
	v_lshlrev_b32_e32 v54, 2, v47
	v_pack_b32_f16 v62, v37, v71
	ds_write_b32 v61, v62 offset:408
	v_add_u32_e32 v62, v54, v48
	v_pack_b32_f16 v63, v38, v72
	ds_write_b32 v62, v63 offset:1428
	v_pack_b32_f16 v63, v39, v73
	ds_write_b32 v62, v63 offset:2448
	v_pack_b32_f16 v63, v40, v74
	ds_write_b32 v61, v63 offset:612
	v_pack_b32_f16 v63, v41, v75
	ds_write_b32 v62, v63 offset:1632
	v_pack_b32_f16 v63, v42, v76
	ds_write_b32 v62, v63 offset:2652
	v_pack_b32_f16 v63, v43, v77
	ds_write_b32 v61, v63 offset:816
	v_pack_b32_f16 v63, v44, v78
	ds_write_b32 v62, v63 offset:1836
	v_pack_b32_f16 v63, v9, v79
	ds_write_b32 v62, v63 offset:2856
	s_waitcnt lgkmcnt(0)
	s_barrier
	s_and_saveexec_b64 s[0:1], vcc
	s_cbranch_execz .LBB0_9
; %bb.8:
	global_load_dword v88, v45, s[6:7] offset:3060
	s_add_u32 s2, s6, 0xbf4
	s_addc_u32 s3, s7, 0
	global_load_dword v89, v45, s[2:3] offset:180
	global_load_dword v90, v45, s[2:3] offset:360
	;; [unrolled: 1-line block ×10, first 2 shown]
	ds_read2_b32 v[63:64], v61 offset1:45
	ds_read2_b32 v[80:81], v61 offset0:90 offset1:135
	ds_read2_b32 v[82:83], v61 offset0:180 offset1:225
	global_load_dword v100, v45, s[2:3] offset:1980
	v_add_u32_e32 v99, 0x400, v61
	ds_read2_b32 v[84:85], v99 offset0:14 offset1:59
	ds_read2_b32 v[86:87], v99 offset0:104 offset1:149
	global_load_dword v101, v45, s[2:3] offset:2160
	global_load_dword v102, v45, s[2:3] offset:2340
	;; [unrolled: 1-line block ×5, first 2 shown]
	s_waitcnt lgkmcnt(4)
	v_lshrrev_b32_e32 v106, 16, v63
	v_lshrrev_b32_e32 v107, 16, v64
	s_waitcnt lgkmcnt(3)
	v_lshrrev_b32_e32 v108, 16, v80
	v_lshrrev_b32_e32 v109, 16, v81
	;; [unrolled: 3-line block ×5, first 2 shown]
	s_waitcnt vmcnt(13)
	v_mul_f16_sdwa v118, v109, v91 dst_sel:DWORD dst_unused:UNUSED_PAD src0_sel:DWORD src1_sel:WORD_1
	v_mul_f16_sdwa v119, v81, v91 dst_sel:DWORD dst_unused:UNUSED_PAD src0_sel:DWORD src1_sel:WORD_1
	s_waitcnt vmcnt(12)
	v_mul_f16_sdwa v120, v110, v92 dst_sel:DWORD dst_unused:UNUSED_PAD src0_sel:DWORD src1_sel:WORD_1
	v_mul_f16_sdwa v121, v82, v92 dst_sel:DWORD dst_unused:UNUSED_PAD src0_sel:DWORD src1_sel:WORD_1
	;; [unrolled: 1-line block ×4, first 2 shown]
	v_fma_f16 v63, v63, v88, -v116
	v_fma_f16 v88, v106, v88, v117
	v_pack_b32_f16 v63, v63, v88
	v_mul_f16_sdwa v88, v107, v89 dst_sel:DWORD dst_unused:UNUSED_PAD src0_sel:DWORD src1_sel:WORD_1
	v_mul_f16_sdwa v106, v64, v89 dst_sel:DWORD dst_unused:UNUSED_PAD src0_sel:DWORD src1_sel:WORD_1
	;; [unrolled: 1-line block ×4, first 2 shown]
	s_waitcnt vmcnt(11)
	v_mul_f16_sdwa v122, v111, v93 dst_sel:DWORD dst_unused:UNUSED_PAD src0_sel:DWORD src1_sel:WORD_1
	v_mul_f16_sdwa v123, v83, v93 dst_sel:DWORD dst_unused:UNUSED_PAD src0_sel:DWORD src1_sel:WORD_1
	s_waitcnt vmcnt(10)
	v_mul_f16_sdwa v124, v112, v94 dst_sel:DWORD dst_unused:UNUSED_PAD src0_sel:DWORD src1_sel:WORD_1
	v_mul_f16_sdwa v125, v84, v94 dst_sel:DWORD dst_unused:UNUSED_PAD src0_sel:DWORD src1_sel:WORD_1
	;; [unrolled: 3-line block ×3, first 2 shown]
	v_fma_f16 v64, v64, v89, -v88
	v_fma_f16 v88, v107, v89, v106
	v_fma_f16 v80, v80, v90, -v116
	v_fma_f16 v89, v108, v90, v117
	;; [unrolled: 2-line block ×7, first 2 shown]
	v_pack_b32_f16 v64, v64, v88
	v_pack_b32_f16 v80, v80, v89
	;; [unrolled: 1-line block ×7, first 2 shown]
	ds_write2_b32 v61, v63, v64 offset1:45
	ds_write2_b32 v61, v80, v81 offset0:90 offset1:135
	ds_write2_b32 v61, v82, v83 offset0:180 offset1:225
	;; [unrolled: 1-line block ×3, first 2 shown]
	ds_read2_b32 v[63:64], v99 offset0:194 offset1:239
	s_waitcnt vmcnt(8)
	v_mul_f16_sdwa v128, v114, v96 dst_sel:DWORD dst_unused:UNUSED_PAD src0_sel:DWORD src1_sel:WORD_1
	v_mul_f16_sdwa v129, v86, v96 dst_sel:DWORD dst_unused:UNUSED_PAD src0_sel:DWORD src1_sel:WORD_1
	s_waitcnt vmcnt(7)
	v_mul_f16_sdwa v130, v115, v97 dst_sel:DWORD dst_unused:UNUSED_PAD src0_sel:DWORD src1_sel:WORD_1
	v_mul_f16_sdwa v80, v87, v97 dst_sel:DWORD dst_unused:UNUSED_PAD src0_sel:DWORD src1_sel:WORD_1
	v_fma_f16 v86, v86, v96, -v128
	v_fma_f16 v95, v114, v96, v129
	v_fma_f16 v96, v87, v97, -v130
	v_fma_f16 v80, v115, v97, v80
	v_pack_b32_f16 v86, v86, v95
	v_pack_b32_f16 v80, v96, v80
	ds_write2_b32 v99, v86, v80 offset0:104 offset1:149
	s_waitcnt lgkmcnt(1)
	v_lshrrev_b32_e32 v80, 16, v63
	s_waitcnt vmcnt(6)
	v_mul_f16_sdwa v81, v80, v98 dst_sel:DWORD dst_unused:UNUSED_PAD src0_sel:DWORD src1_sel:WORD_1
	v_fma_f16 v81, v63, v98, -v81
	v_mul_f16_sdwa v63, v63, v98 dst_sel:DWORD dst_unused:UNUSED_PAD src0_sel:DWORD src1_sel:WORD_1
	v_lshrrev_b32_e32 v82, 16, v64
	v_fma_f16 v63, v80, v98, v63
	s_waitcnt vmcnt(5)
	v_mul_f16_sdwa v80, v82, v100 dst_sel:DWORD dst_unused:UNUSED_PAD src0_sel:DWORD src1_sel:WORD_1
	v_add_u32_e32 v84, 0x800, v61
	v_pack_b32_f16 v63, v81, v63
	v_fma_f16 v83, v64, v100, -v80
	ds_read2_b32 v[80:81], v84 offset0:28 offset1:73
	v_mul_f16_sdwa v64, v64, v100 dst_sel:DWORD dst_unused:UNUSED_PAD src0_sel:DWORD src1_sel:WORD_1
	v_fma_f16 v64, v82, v100, v64
	v_pack_b32_f16 v64, v83, v64
	ds_write2_b32 v99, v63, v64 offset0:194 offset1:239
	s_waitcnt lgkmcnt(1)
	v_lshrrev_b32_e32 v63, 16, v80
	s_waitcnt vmcnt(4)
	v_mul_f16_sdwa v64, v63, v101 dst_sel:DWORD dst_unused:UNUSED_PAD src0_sel:DWORD src1_sel:WORD_1
	v_fma_f16 v64, v80, v101, -v64
	v_mul_f16_sdwa v80, v80, v101 dst_sel:DWORD dst_unused:UNUSED_PAD src0_sel:DWORD src1_sel:WORD_1
	v_fma_f16 v63, v63, v101, v80
	v_lshrrev_b32_e32 v82, 16, v81
	v_pack_b32_f16 v80, v64, v63
	s_waitcnt vmcnt(3)
	v_mul_f16_sdwa v63, v82, v102 dst_sel:DWORD dst_unused:UNUSED_PAD src0_sel:DWORD src1_sel:WORD_1
	v_fma_f16 v83, v81, v102, -v63
	ds_read2_b32 v[63:64], v84 offset0:118 offset1:163
	v_mul_f16_sdwa v81, v81, v102 dst_sel:DWORD dst_unused:UNUSED_PAD src0_sel:DWORD src1_sel:WORD_1
	v_fma_f16 v81, v82, v102, v81
	v_pack_b32_f16 v81, v83, v81
	ds_write2_b32 v84, v80, v81 offset0:28 offset1:73
	s_waitcnt lgkmcnt(1)
	v_lshrrev_b32_e32 v80, 16, v63
	s_waitcnt vmcnt(2)
	v_mul_f16_sdwa v81, v80, v103 dst_sel:DWORD dst_unused:UNUSED_PAD src0_sel:DWORD src1_sel:WORD_1
	v_fma_f16 v81, v63, v103, -v81
	v_mul_f16_sdwa v63, v63, v103 dst_sel:DWORD dst_unused:UNUSED_PAD src0_sel:DWORD src1_sel:WORD_1
	v_fma_f16 v63, v80, v103, v63
	v_lshrrev_b32_e32 v80, 16, v64
	ds_read_b32 v82, v61 offset:2880
	v_pack_b32_f16 v63, v81, v63
	s_waitcnt vmcnt(1)
	v_mul_f16_sdwa v81, v80, v104 dst_sel:DWORD dst_unused:UNUSED_PAD src0_sel:DWORD src1_sel:WORD_1
	v_fma_f16 v81, v64, v104, -v81
	v_mul_f16_sdwa v64, v64, v104 dst_sel:DWORD dst_unused:UNUSED_PAD src0_sel:DWORD src1_sel:WORD_1
	v_fma_f16 v64, v80, v104, v64
	v_pack_b32_f16 v64, v81, v64
	ds_write2_b32 v84, v63, v64 offset0:118 offset1:163
	s_waitcnt lgkmcnt(1)
	v_lshrrev_b32_e32 v63, 16, v82
	s_waitcnt vmcnt(0)
	v_mul_f16_sdwa v64, v63, v105 dst_sel:DWORD dst_unused:UNUSED_PAD src0_sel:DWORD src1_sel:WORD_1
	v_mul_f16_sdwa v80, v82, v105 dst_sel:DWORD dst_unused:UNUSED_PAD src0_sel:DWORD src1_sel:WORD_1
	v_fma_f16 v64, v82, v105, -v64
	v_fma_f16 v63, v63, v105, v80
	v_pack_b32_f16 v63, v64, v63
	ds_write_b32 v61, v63 offset:2880
.LBB0_9:
	s_or_b64 exec, exec, s[0:1]
	s_waitcnt lgkmcnt(0)
	s_barrier
	s_and_saveexec_b64 s[0:1], vcc
	s_cbranch_execz .LBB0_11
; %bb.10:
	v_add_u32_e32 v9, 0x400, v61
	ds_read2_b32 v[31:32], v61 offset1:45
	ds_read2_b32 v[33:34], v61 offset0:90 offset1:135
	ds_read2_b32 v[35:36], v61 offset0:180 offset1:225
	;; [unrolled: 1-line block ×5, first 2 shown]
	v_add_u32_e32 v9, 0x800, v61
	ds_read2_b32 v[43:44], v9 offset0:28 offset1:73
	ds_read2_b32 v[9:10], v9 offset0:118 offset1:163
	ds_read_b32 v50, v61 offset:2880
	s_waitcnt lgkmcnt(8)
	v_lshrrev_b32_e32 v65, 16, v31
	v_lshrrev_b32_e32 v66, 16, v32
	s_waitcnt lgkmcnt(7)
	v_lshrrev_b32_e32 v67, 16, v33
	v_lshrrev_b32_e32 v68, 16, v34
	;; [unrolled: 3-line block ×8, first 2 shown]
	s_waitcnt lgkmcnt(0)
	v_lshrrev_b32_e32 v52, 16, v50
.LBB0_11:
	s_or_b64 exec, exec, s[0:1]
	v_add_u32_e32 v64, 0x198, v62
	v_add_u32_e32 v63, 0x264, v62
	;; [unrolled: 1-line block ×3, first 2 shown]
	s_barrier
	s_and_saveexec_b64 s[0:1], vcc
	s_cbranch_execz .LBB0_13
; %bb.12:
	v_add_f16_e32 v102, v52, v66
	v_mul_f16_e32 v103, 0xbbdd, v102
	v_sub_f16_e32 v80, v32, v50
	s_movk_i32 s25, 0x31e1
	v_fma_f16 v81, v80, s25, v103
	v_add_f16_e32 v104, v51, v67
	v_add_f16_e32 v82, v65, v81
	v_mul_f16_e32 v105, 0x3b76, v104
	v_sub_f16_e32 v81, v33, v10
	s_mov_b32 s15, 0xb5c8
	v_fma_f16 v83, v81, s15, v105
	v_add_f16_e32 v106, v79, v68
	v_add_f16_e32 v82, v83, v82
	v_mul_f16_e32 v107, 0xbacd, v106
	v_sub_f16_e32 v83, v34, v9
	s_movk_i32 s21, 0x3836
	v_fma_f16 v84, v83, s21, v107
	v_add_f16_e32 v108, v78, v69
	v_add_f16_e32 v82, v84, v82
	v_mul_f16_e32 v109, 0x39e9, v108
	v_sub_f16_e32 v84, v35, v44
	s_mov_b32 s18, 0xb964
	v_fma_f16 v85, v84, s18, v109
	v_add_f16_e32 v110, v77, v70
	;; [unrolled: 12-line block ×3, first 2 shown]
	v_add_f16_e32 v82, v87, v82
	v_mul_f16_e32 v115, 0xb461, v114
	v_sub_f16_e32 v87, v38, v41
	s_movk_i32 s26, 0x3bb2
	v_fma_f16 v88, v87, s26, v115
	v_add_f16_e32 v116, v74, v73
	v_add_f16_e32 v82, v88, v82
	v_mul_f16_e32 v117, 0x2de8, v116
	v_sub_f16_e32 v88, v39, v40
	s_mov_b32 s23, 0xbbf7
	v_fma_f16 v89, v88, s23, v117
	v_sub_f16_e32 v118, v66, v52
	s_mov_b32 s2, 0xbbdd
	v_add_f16_e32 v82, v89, v82
	v_add_f16_e32 v89, v50, v32
	v_mul_f16_e32 v119, 0xb1e1, v118
	v_fma_f16 v90, v89, s2, v119
	v_sub_f16_e32 v120, v67, v51
	s_movk_i32 s4, 0x3b76
	v_add_f16_e32 v91, v31, v90
	v_add_f16_e32 v90, v10, v33
	v_mul_f16_e32 v121, 0x35c8, v120
	v_fma_f16 v92, v90, s4, v121
	v_sub_f16_e32 v122, v68, v79
	s_mov_b32 s3, 0xbacd
	v_add_f16_e32 v92, v92, v91
	v_add_f16_e32 v91, v9, v34
	v_mul_f16_e32 v123, 0xb836, v122
	v_fma_f16 v93, v91, s3, v123
	v_sub_f16_e32 v124, v69, v78
	s_movk_i32 s14, 0x39e9
	v_add_f16_e32 v93, v93, v92
	v_add_f16_e32 v92, v44, v35
	v_mul_f16_e32 v125, 0x3964, v124
	;; [unrolled: 12-line block ×4, first 2 shown]
	v_fma_f16 v98, v97, s19, v133
	v_mul_f16_e32 v134, 0xbacd, v102
	v_add_f16_e32 v94, v98, v94
	v_fma_f16 v98, v80, s21, v134
	v_mul_f16_e32 v135, 0x3722, v104
	s_movk_i32 s34, 0x3bf7
	v_add_f16_e32 v98, v65, v98
	v_fma_f16 v99, v81, s20, v135
	v_mul_f16_e32 v136, 0x2de8, v106
	s_mov_b32 s27, 0xba62
	v_add_f16_e32 v98, v99, v98
	v_fma_f16 v99, v83, s34, v136
	v_mul_f16_e32 v137, 0xb8d2, v108
	s_movk_i32 s28, 0x35c8
	v_add_f16_e32 v98, v99, v98
	v_fma_f16 v99, v84, s27, v137
	v_mul_f16_e32 v138, 0x3b76, v110
	v_add_f16_e32 v98, v99, v98
	v_fma_f16 v99, v85, s28, v138
	v_mul_f16_e32 v139, 0xbbdd, v112
	;; [unrolled: 3-line block ×13, first 2 shown]
	s_mov_b32 s29, 0xbbb2
	v_add_f16_e32 v99, v100, v99
	v_fma_f16 v100, v80, s31, v150
	v_mul_f16_e32 v151, 0xb461, v104
	v_add_f16_e32 v100, v65, v100
	v_fma_f16 v101, v81, s29, v151
	v_mul_f16_e32 v152, 0x3b76, v106
	;; [unrolled: 3-line block ×4, first 2 shown]
	s_movk_i32 s33, 0x3964
	v_add_f16_e32 v100, v101, v100
	v_fma_f16 v101, v85, s23, v154
	v_mul_f16_e32 v155, 0x39e9, v112
	v_add_f16_e32 v100, v101, v100
	v_fma_f16 v101, v86, s33, v155
	v_mul_f16_e32 v156, 0xbbdd, v114
	;; [unrolled: 3-line block ×5, first 2 shown]
	v_add_f16_e32 v101, v31, v101
	v_fma_f16 v160, v90, s17, v159
	v_add_f16_e32 v101, v160, v101
	v_mul_f16_e32 v160, 0xb5c8, v122
	v_fma_f16 v161, v91, s4, v160
	v_add_f16_e32 v101, v161, v101
	v_mul_f16_e32 v161, 0xb836, v124
	;; [unrolled: 3-line block ×7, first 2 shown]
	s_mov_b32 s24, 0xb836
	v_fma_f16 v167, v80, s26, v166
	v_mul_f16_e32 v168, 0xbacd, v104
	v_add_f16_e32 v167, v65, v167
	v_fma_f16 v169, v81, s24, v168
	v_add_f16_e32 v167, v169, v167
	v_mul_f16_e32 v169, 0x39e9, v106
	v_add_f16_e32 v32, v32, v31
	v_fma_f16 v170, v83, s18, v169
	v_add_f16_e32 v32, v33, v32
	s_movk_i32 s30, 0x3b29
	v_add_f16_e32 v167, v170, v167
	v_mul_f16_e32 v170, 0x3722, v108
	v_add_f16_e32 v32, v34, v32
	v_fma_f16 v171, v84, s30, v170
	v_add_f16_e32 v32, v35, v32
	v_add_f16_e32 v167, v171, v167
	v_mul_f16_e32 v171, 0xbbdd, v110
	v_add_f16_e32 v32, v36, v32
	v_fma_f16 v172, v85, s25, v171
	v_add_f16_e32 v32, v37, v32
	;; [unrolled: 5-line block ×5, first 2 shown]
	s_mov_b32 s22, 0xb1e1
	v_add_f16_e32 v167, v175, v167
	v_mul_f16_e32 v175, 0xbbb2, v118
	v_add_f16_e32 v32, v44, v32
	v_fma_f16 v176, v89, s17, v175
	v_mul_f16_e32 v177, 0x3836, v120
	v_add_f16_e32 v9, v9, v32
	v_fma_f16 v32, v80, s22, v103
	v_add_f16_e32 v176, v31, v176
	v_fma_f16 v178, v90, s3, v177
	;; [unrolled: 2-line block ×3, first 2 shown]
	v_add_f16_e32 v176, v178, v176
	v_mul_f16_e32 v178, 0x3964, v122
	v_add_f16_e32 v32, v33, v32
	v_fma_f16 v33, v83, s24, v107
	v_fma_f16 v179, v91, s14, v178
	v_add_f16_e32 v32, v33, v32
	v_fma_f16 v33, v84, s33, v109
	v_add_f16_e32 v176, v179, v176
	v_mul_f16_e32 v179, 0xbb29, v124
	v_add_f16_e32 v32, v33, v32
	v_fma_f16 v33, v85, s27, v111
	v_fma_f16 v180, v92, s16, v179
	v_add_f16_e32 v32, v33, v32
	v_fma_f16 v33, v86, s30, v113
	;; [unrolled: 7-line block ×3, first 2 shown]
	v_add_f16_e32 v176, v181, v176
	v_mul_f16_e32 v181, 0x3bf7, v128
	v_add_f16_e32 v32, v33, v32
	v_fma_f16 v33, v89, s2, -v119
	v_fma_f16 v182, v95, s19, v181
	v_add_f16_e32 v33, v31, v33
	v_fma_f16 v34, v90, s4, -v121
	v_add_f16_e32 v176, v182, v176
	v_mul_f16_e32 v182, 0xb5c8, v130
	v_add_f16_e32 v33, v34, v33
	v_fma_f16 v34, v91, s3, -v123
	v_fma_f16 v183, v96, s4, v182
	v_add_f16_e32 v33, v34, v33
	v_fma_f16 v34, v92, s14, -v125
	;; [unrolled: 7-line block ×3, first 2 shown]
	v_add_f16_e32 v176, v184, v176
	v_mul_f16_e32 v184, 0x2de8, v102
	v_add_f16_e32 v33, v34, v33
	v_fma_f16 v34, v96, s17, -v131
	v_fma_f16 v185, v80, s34, v184
	v_mul_f16_e32 v186, 0xbbdd, v104
	v_add_f16_e32 v33, v34, v33
	v_fma_f16 v34, v97, s19, -v133
	v_add_f16_e32 v185, v65, v185
	v_fma_f16 v187, v81, s25, v186
	v_add_f16_e32 v33, v34, v33
	v_fma_f16 v34, v80, s24, v134
	v_add_f16_e32 v185, v187, v185
	v_mul_f16_e32 v187, 0xb461, v106
	v_add_f16_e32 v34, v65, v34
	v_fma_f16 v35, v81, s30, v135
	v_fma_f16 v188, v83, s29, v187
	v_add_f16_e32 v34, v35, v34
	v_fma_f16 v35, v83, s23, v136
	v_add_f16_e32 v185, v188, v185
	v_mul_f16_e32 v188, 0x3b76, v108
	v_add_f16_e32 v34, v35, v34
	v_fma_f16 v35, v84, s31, v137
	;; [unrolled: 7-line block ×4, first 2 shown]
	v_fma_f16 v191, v86, s21, v190
	v_add_f16_e32 v34, v35, v34
	v_fma_f16 v35, v89, s3, -v142
	v_add_f16_e32 v185, v191, v185
	v_mul_f16_e32 v191, 0xb8d2, v114
	v_add_f16_e32 v35, v31, v35
	v_fma_f16 v36, v90, s16, -v143
	v_fma_f16 v192, v87, s27, v191
	v_add_f16_e32 v35, v36, v35
	v_fma_f16 v36, v91, s19, -v144
	v_add_f16_e32 v185, v192, v185
	v_mul_f16_e32 v192, 0x39e9, v116
	v_add_f16_e32 v35, v36, v35
	v_fma_f16 v36, v92, s5, -v145
	;; [unrolled: 7-line block ×3, first 2 shown]
	v_fma_f16 v194, v89, s19, v193
	v_mul_f16_e32 v195, 0xb1e1, v120
	v_add_f16_e32 v35, v36, v35
	v_fma_f16 v36, v96, s14, -v148
	v_add_f16_e32 v194, v31, v194
	v_fma_f16 v196, v90, s2, v195
	v_add_f16_e32 v35, v36, v35
	v_fma_f16 v36, v97, s17, -v149
	v_add_f16_e32 v194, v196, v194
	v_mul_f16_e32 v196, 0x3bb2, v122
	v_add_f16_e32 v35, v36, v35
	v_fma_f16 v36, v80, s27, v150
	v_fma_f16 v197, v91, s17, v196
	v_add_f16_e32 v36, v65, v36
	v_fma_f16 v37, v81, s26, v151
	v_add_f16_e32 v194, v197, v194
	v_mul_f16_e32 v197, 0x35c8, v124
	v_add_f16_e32 v36, v37, v36
	v_fma_f16 v37, v83, s15, v152
	v_fma_f16 v198, v92, s4, v197
	v_add_f16_e32 v36, v37, v36
	v_fma_f16 v37, v84, s24, v153
	;; [unrolled: 7-line block ×4, first 2 shown]
	v_add_f16_e32 v194, v200, v194
	v_mul_f16_e32 v200, 0x3a62, v130
	v_add_f16_e32 v36, v37, v36
	v_fma_f16 v37, v89, s5, -v158
	v_fma_f16 v201, v96, s5, v200
	v_add_f16_e32 v37, v31, v37
	v_fma_f16 v38, v90, s17, -v159
	v_add_f16_e32 v194, v201, v194
	v_mul_f16_e32 v201, 0x3964, v132
	v_add_f16_e32 v37, v38, v37
	v_fma_f16 v38, v91, s4, -v160
	v_fma_f16 v202, v97, s14, v201
	v_add_f16_e32 v37, v38, v37
	v_fma_f16 v38, v92, s3, -v161
	v_add_f16_e32 v194, v202, v194
	v_mul_f16_e32 v202, 0x3722, v102
	v_add_f16_e32 v37, v38, v37
	v_fma_f16 v38, v93, s19, -v162
	v_fma_f16 v203, v80, s30, v202
	v_mul_f16_e32 v204, 0xb8d2, v104
	v_add_f16_e32 v37, v38, v37
	v_fma_f16 v38, v95, s14, -v163
	v_add_f16_e32 v203, v65, v203
	v_fma_f16 v205, v81, s31, v204
	v_add_f16_e32 v37, v38, v37
	v_fma_f16 v38, v96, s2, -v164
	v_add_f16_e32 v203, v205, v203
	v_mul_f16_e32 v205, 0xbbdd, v106
	v_add_f16_e32 v37, v38, v37
	v_fma_f16 v38, v97, s16, -v165
	v_fma_f16 v206, v83, s22, v205
	v_add_f16_e32 v37, v38, v37
	v_fma_f16 v38, v80, s29, v166
	v_add_f16_e32 v203, v206, v203
	v_mul_f16_e32 v206, 0xb461, v108
	v_add_f16_e32 v38, v65, v38
	v_fma_f16 v39, v81, s21, v168
	v_fma_f16 v207, v84, s29, v206
	v_add_f16_e32 v38, v39, v38
	v_fma_f16 v39, v83, s33, v169
	v_add_f16_e32 v203, v207, v203
	v_mul_f16_e32 v207, 0x39e9, v110
	v_add_f16_e32 v38, v39, v38
	v_fma_f16 v39, v84, s20, v170
	;; [unrolled: 7-line block ×4, first 2 shown]
	v_fma_f16 v210, v87, s34, v209
	v_add_f16_e32 v38, v39, v38
	v_fma_f16 v39, v89, s17, -v175
	v_add_f16_e32 v203, v210, v203
	v_mul_f16_e32 v210, 0xbacd, v116
	v_add_f16_e32 v39, v31, v39
	v_fma_f16 v40, v90, s3, -v177
	v_fma_f16 v211, v88, s21, v210
	v_add_f16_e32 v39, v40, v39
	v_fma_f16 v40, v91, s14, -v178
	v_add_f16_e32 v203, v211, v203
	v_mul_f16_e32 v211, 0xbb29, v118
	v_add_f16_e32 v39, v40, v39
	v_fma_f16 v40, v92, s16, -v179
	v_fma_f16 v212, v89, s16, v211
	v_mul_f16_e32 v213, 0xba62, v120
	v_add_f16_e32 v39, v40, v39
	v_fma_f16 v40, v93, s2, -v180
	v_add_f16_e32 v212, v31, v212
	v_fma_f16 v214, v90, s5, v213
	v_add_f16_e32 v39, v40, v39
	v_fma_f16 v40, v95, s19, -v181
	v_add_f16_e32 v212, v214, v212
	v_mul_f16_e32 v214, 0x31e1, v122
	v_add_f16_e32 v39, v40, v39
	v_fma_f16 v40, v96, s4, -v182
	v_fma_f16 v215, v91, s2, v214
	v_add_f16_e32 v39, v40, v39
	v_fma_f16 v40, v97, s5, -v183
	v_add_f16_e32 v212, v215, v212
	v_mul_f16_e32 v215, 0x3bb2, v124
	v_add_f16_e32 v39, v40, v39
	v_fma_f16 v40, v80, s23, v184
	v_fma_f16 v216, v92, s17, v215
	v_add_f16_e32 v40, v65, v40
	v_fma_f16 v41, v81, s22, v186
	v_add_f16_e32 v212, v216, v212
	v_mul_f16_e32 v216, 0x3964, v126
	v_add_f16_e32 v40, v41, v40
	v_fma_f16 v41, v83, s26, v187
	v_fma_f16 v217, v93, s14, v216
	v_add_f16_e32 v40, v41, v40
	v_fma_f16 v41, v84, s28, v188
	v_add_f16_e32 v212, v217, v212
	v_mul_f16_e32 v217, 0xb5c8, v128
	v_add_f16_e32 v40, v41, v40
	v_fma_f16 v41, v85, s20, v189
	v_fma_f16 v218, v95, s4, v217
	v_add_f16_e32 v40, v41, v40
	v_fma_f16 v41, v86, s24, v190
	v_add_f16_e32 v212, v218, v212
	v_mul_f16_e32 v218, 0xbbf7, v130
	v_add_f16_e32 v40, v41, v40
	v_fma_f16 v41, v87, s31, v191
	v_fma_f16 v219, v96, s19, v218
	v_add_f16_e32 v40, v41, v40
	v_fma_f16 v41, v88, s33, v192
	v_add_f16_e32 v212, v219, v212
	v_mul_f16_e32 v219, 0xb836, v132
	v_add_f16_e32 v40, v41, v40
	v_fma_f16 v41, v89, s19, -v193
	v_fma_f16 v220, v97, s3, v219
	v_add_f16_e32 v41, v31, v41
	v_fma_f16 v42, v90, s2, -v195
	v_add_f16_e32 v212, v220, v212
	v_mul_f16_e32 v220, 0x39e9, v102
	v_add_f16_e32 v41, v42, v41
	v_fma_f16 v42, v91, s17, -v196
	v_fma_f16 v221, v80, s33, v220
	v_mul_f16_e32 v222, 0x2de8, v104
	v_add_f16_e32 v41, v42, v41
	v_fma_f16 v42, v92, s4, -v197
	v_add_f16_e32 v221, v65, v221
	v_fma_f16 v223, v81, s34, v222
	v_add_f16_e32 v41, v42, v41
	v_fma_f16 v42, v93, s16, -v198
	v_add_f16_e32 v221, v223, v221
	v_mul_f16_e32 v223, 0xb8d2, v106
	v_add_f16_e32 v41, v42, v41
	v_fma_f16 v42, v95, s3, -v199
	v_fma_f16 v224, v83, s31, v223
	v_add_f16_e32 v41, v42, v41
	v_fma_f16 v42, v96, s5, -v200
	v_add_f16_e32 v221, v224, v221
	v_mul_f16_e32 v224, 0xbbdd, v108
	v_add_f16_e32 v41, v42, v41
	v_fma_f16 v42, v97, s14, -v201
	v_fma_f16 v225, v84, s25, v224
	v_add_f16_e32 v41, v42, v41
	v_fma_f16 v42, v80, s20, v202
	v_add_f16_e32 v221, v225, v221
	v_mul_f16_e32 v225, 0xbacd, v110
	v_add_f16_e32 v42, v65, v42
	v_fma_f16 v43, v81, s27, v204
	v_fma_f16 v226, v85, s24, v225
	v_add_f16_e32 v42, v43, v42
	v_fma_f16 v43, v83, s25, v205
	v_add_f16_e32 v221, v226, v221
	v_mul_f16_e32 v226, 0xb461, v112
	v_add_f16_e32 v42, v43, v42
	v_fma_f16 v43, v84, s26, v206
	;; [unrolled: 7-line block ×4, first 2 shown]
	v_fma_f16 v229, v88, s15, v228
	v_add_f16_e32 v42, v43, v42
	v_fma_f16 v43, v89, s16, -v211
	v_add_f16_e32 v221, v229, v221
	v_mul_f16_e32 v229, 0xb964, v118
	v_add_f16_e32 v43, v31, v43
	v_fma_f16 v44, v90, s5, -v213
	v_fma_f16 v230, v89, s14, v229
	v_mul_f16_e32 v231, 0xbbf7, v120
	v_add_f16_e32 v43, v44, v43
	v_fma_f16 v44, v91, s2, -v214
	v_add_f16_e32 v230, v31, v230
	v_fma_f16 v232, v90, s19, v231
	v_add_f16_e32 v9, v10, v9
	v_add_f16_e32 v10, v66, v65
	;; [unrolled: 1-line block ×3, first 2 shown]
	v_fma_f16 v44, v92, s17, -v215
	v_add_f16_e32 v230, v232, v230
	v_mul_f16_e32 v232, 0xba62, v122
	v_add_f16_e32 v10, v67, v10
	v_add_f16_e32 v43, v44, v43
	v_fma_f16 v44, v93, s14, -v216
	v_fma_f16 v233, v91, s5, v232
	v_add_f16_e32 v10, v68, v10
	v_add_f16_e32 v43, v44, v43
	v_fma_f16 v44, v95, s4, -v217
	v_add_f16_e32 v230, v233, v230
	v_mul_f16_e32 v233, 0xb1e1, v124
	v_add_f16_e32 v10, v69, v10
	v_add_f16_e32 v43, v44, v43
	v_fma_f16 v44, v96, s19, -v218
	v_fma_f16 v234, v92, s2, v233
	v_add_f16_e32 v10, v70, v10
	v_add_f16_e32 v43, v44, v43
	v_fma_f16 v44, v97, s3, -v219
	v_add_f16_e32 v230, v234, v230
	v_mul_f16_e32 v234, 0x3836, v126
	v_add_f16_e32 v10, v71, v10
	v_add_f16_e32 v43, v44, v43
	v_fma_f16 v44, v80, s18, v220
	v_fma_f16 v235, v93, s3, v234
	v_add_f16_e32 v9, v50, v9
	v_add_f16_e32 v10, v72, v10
	;; [unrolled: 1-line block ×3, first 2 shown]
	v_fma_f16 v50, v81, s23, v222
	v_add_f16_e32 v230, v235, v230
	v_mul_f16_e32 v235, 0x3bb2, v128
	v_add_f16_e32 v10, v73, v10
	v_add_f16_e32 v44, v50, v44
	v_fma_f16 v50, v83, s27, v223
	v_fma_f16 v236, v95, s17, v235
	v_add_f16_e32 v10, v74, v10
	v_add_f16_e32 v44, v50, v44
	v_fma_f16 v50, v84, s22, v224
	v_add_f16_e32 v230, v236, v230
	v_mul_f16_e32 v236, 0x3b29, v130
	v_add_f16_e32 v10, v75, v10
	v_add_f16_e32 v44, v50, v44
	v_fma_f16 v50, v85, s21, v225
	v_fma_f16 v237, v96, s16, v236
	v_add_f16_e32 v10, v76, v10
	v_add_f16_e32 v44, v50, v44
	v_fma_f16 v50, v86, s26, v226
	v_add_f16_e32 v230, v237, v230
	v_mul_f16_e32 v237, 0x35c8, v132
	v_add_f16_e32 v10, v77, v10
	v_add_f16_e32 v44, v50, v44
	v_fma_f16 v50, v87, s30, v227
	v_fma_f16 v238, v97, s4, v237
	v_mul_f16_e32 v102, 0x3b76, v102
	v_add_f16_e32 v10, v78, v10
	v_add_f16_e32 v44, v50, v44
	v_fma_f16 v50, v88, s28, v228
	v_add_f16_e32 v230, v238, v230
	v_fma_f16 v238, v80, s28, v102
	v_mul_f16_e32 v104, 0x39e9, v104
	v_add_f16_e32 v10, v79, v10
	v_add_f16_e32 v44, v50, v44
	v_fma_f16 v50, v89, s14, -v229
	v_add_f16_e32 v238, v65, v238
	v_fma_f16 v239, v81, s33, v104
	v_mul_f16_e32 v106, 0x3722, v106
	v_add_f16_e32 v10, v51, v10
	v_add_f16_e32 v50, v31, v50
	v_fma_f16 v51, v90, s19, -v231
	v_add_f16_e32 v238, v239, v238
	v_fma_f16 v239, v83, s30, v106
	v_mul_f16_e32 v108, 0x2de8, v108
	v_add_f16_e32 v50, v51, v50
	v_fma_f16 v51, v91, s5, -v232
	v_add_f16_e32 v238, v239, v238
	v_fma_f16 v239, v84, s34, v108
	v_mul_f16_e32 v110, 0xb461, v110
	;; [unrolled: 5-line block ×7, first 2 shown]
	v_add_f16_e32 v50, v51, v50
	v_fma_f16 v51, v80, s15, v102
	v_add_f16_e32 v239, v31, v239
	v_fma_f16 v240, v90, s14, v120
	v_mul_f16_e32 v122, 0xbb29, v122
	v_add_f16_e32 v10, v52, v10
	v_add_f16_e32 v51, v65, v51
	v_fma_f16 v52, v81, s18, v104
	v_add_f16_e32 v239, v240, v239
	v_fma_f16 v240, v91, s16, v122
	v_mul_f16_e32 v124, 0xbbf7, v124
	v_add_f16_e32 v51, v52, v51
	v_fma_f16 v52, v83, s20, v106
	v_add_f16_e32 v239, v240, v239
	v_fma_f16 v240, v92, s19, v124
	v_mul_f16_e32 v126, 0xbbb2, v126
	;; [unrolled: 5-line block ×5, first 2 shown]
	v_add_f16_e32 v51, v52, v51
	v_fma_f16 v52, v87, s24, v114
	v_add_f16_e32 v239, v240, v239
	v_fma_f16 v240, v97, s2, v132
	;; [unrolled: 2-line block ×3, first 2 shown]
	v_add_f16_e32 v239, v240, v239
	v_add_f16_e32 v51, v52, v51
	v_fma_f16 v52, v89, s4, -v118
	v_add_f16_e32 v31, v31, v52
	v_fma_f16 v52, v90, s14, -v120
	v_lshl_add_u32 v48, v49, 2, v48
	v_pack_b32_f16 v49, v239, v238
	v_pack_b32_f16 v9, v9, v10
	v_add_f16_e32 v31, v52, v31
	v_fma_f16 v52, v91, s16, -v122
	ds_write2_b32 v48, v9, v49 offset1:1
	v_pack_b32_f16 v9, v212, v203
	v_pack_b32_f16 v10, v230, v221
	v_add_f16_e32 v31, v52, v31
	v_fma_f16 v52, v92, s19, -v124
	ds_write2_b32 v48, v10, v9 offset0:2 offset1:3
	v_pack_b32_f16 v9, v176, v167
	v_pack_b32_f16 v10, v194, v185
	v_add_f16_e32 v31, v52, v31
	v_fma_f16 v52, v93, s17, -v126
	ds_write2_b32 v48, v10, v9 offset0:4 offset1:5
	v_pack_b32_f16 v9, v99, v98
	v_pack_b32_f16 v10, v101, v100
	v_add_f16_e32 v31, v52, v31
	v_fma_f16 v52, v95, s5, -v128
	ds_write2_b32 v48, v10, v9 offset0:6 offset1:7
	v_pack_b32_f16 v9, v33, v32
	v_pack_b32_f16 v10, v94, v82
	v_add_f16_e32 v31, v52, v31
	v_fma_f16 v52, v96, s3, -v130
	ds_write2_b32 v48, v10, v9 offset0:8 offset1:9
	v_pack_b32_f16 v9, v37, v36
	v_pack_b32_f16 v10, v35, v34
	v_add_f16_e32 v31, v52, v31
	v_fma_f16 v52, v97, s2, -v132
	ds_write2_b32 v48, v10, v9 offset0:10 offset1:11
	v_pack_b32_f16 v9, v41, v40
	v_pack_b32_f16 v10, v39, v38
	v_add_f16_e32 v31, v52, v31
	ds_write2_b32 v48, v10, v9 offset0:12 offset1:13
	v_pack_b32_f16 v9, v50, v44
	v_pack_b32_f16 v10, v43, v42
	ds_write2_b32 v48, v10, v9 offset0:14 offset1:15
	v_pack_b32_f16 v9, v31, v51
	ds_write_b32 v48, v9 offset:64
.LBB0_13:
	s_or_b64 exec, exec, s[0:1]
	s_waitcnt lgkmcnt(0)
	s_barrier
	ds_read2_b32 v[9:10], v53 offset1:51
	ds_read2_b32 v[31:32], v53 offset0:204 offset1:255
	v_add_u32_e32 v43, 0x600, v53
	ds_read2_b32 v[33:34], v43 offset0:126 offset1:177
	v_add_u32_e32 v48, 0x400, v53
	ds_read2_b32 v[35:36], v48 offset0:50 offset1:101
	s_waitcnt lgkmcnt(2)
	v_lshrrev_b32_e32 v49, 16, v32
	v_mul_f16_sdwa v77, v13, v49 dst_sel:DWORD dst_unused:UNUSED_PAD src0_sel:WORD_1 src1_sel:DWORD
	s_waitcnt lgkmcnt(1)
	v_lshrrev_b32_e32 v50, 16, v33
	v_fma_f16 v77, v13, v32, v77
	v_mul_f16_sdwa v32, v13, v32 dst_sel:DWORD dst_unused:UNUSED_PAD src0_sel:WORD_1 src1_sel:DWORD
	v_fma_f16 v13, v13, v49, -v32
	v_mul_f16_sdwa v32, v14, v50 dst_sel:DWORD dst_unused:UNUSED_PAD src0_sel:WORD_1 src1_sel:DWORD
	s_waitcnt lgkmcnt(0)
	v_lshrrev_b32_e32 v52, 16, v35
	v_add_u32_e32 v65, 0x800, v53
	v_fma_f16 v32, v14, v33, v32
	v_mul_f16_sdwa v33, v14, v33 dst_sel:DWORD dst_unused:UNUSED_PAD src0_sel:WORD_1 src1_sel:DWORD
	ds_read2_b32 v[39:40], v65 offset0:100 offset1:151
	v_fma_f16 v14, v14, v50, -v33
	v_mul_f16_sdwa v33, v11, v52 dst_sel:DWORD dst_unused:UNUSED_PAD src0_sel:WORD_1 src1_sel:DWORD
	v_lshrrev_b32_e32 v66, 16, v34
	v_fma_f16 v33, v11, v35, v33
	v_mul_f16_sdwa v35, v11, v35 dst_sel:DWORD dst_unused:UNUSED_PAD src0_sel:WORD_1 src1_sel:DWORD
	ds_read2_b32 v[41:42], v48 offset0:152 offset1:203
	v_fma_f16 v11, v11, v52, -v35
	v_mul_f16_sdwa v35, v12, v66 dst_sel:DWORD dst_unused:UNUSED_PAD src0_sel:WORD_1 src1_sel:DWORD
	v_lshrrev_b32_e32 v68, 16, v36
	v_fma_f16 v35, v12, v34, v35
	v_mul_f16_sdwa v34, v12, v34 dst_sel:DWORD dst_unused:UNUSED_PAD src0_sel:WORD_1 src1_sel:DWORD
	v_fma_f16 v12, v12, v66, -v34
	v_mul_f16_sdwa v34, v15, v68 dst_sel:DWORD dst_unused:UNUSED_PAD src0_sel:WORD_1 src1_sel:DWORD
	s_waitcnt lgkmcnt(1)
	v_lshrrev_b32_e32 v69, 16, v39
	v_fma_f16 v34, v15, v36, v34
	v_mul_f16_sdwa v36, v15, v36 dst_sel:DWORD dst_unused:UNUSED_PAD src0_sel:WORD_1 src1_sel:DWORD
	v_fma_f16 v15, v15, v68, -v36
	v_mul_f16_sdwa v36, v16, v69 dst_sel:DWORD dst_unused:UNUSED_PAD src0_sel:WORD_1 src1_sel:DWORD
	s_waitcnt lgkmcnt(0)
	v_lshrrev_b32_e32 v72, 16, v41
	v_fma_f16 v36, v16, v39, v36
	v_mul_f16_sdwa v39, v16, v39 dst_sel:DWORD dst_unused:UNUSED_PAD src0_sel:WORD_1 src1_sel:DWORD
	ds_read_b32 v71, v53 offset:2856
	v_fma_f16 v16, v16, v69, -v39
	v_mul_f16_sdwa v39, v17, v72 dst_sel:DWORD dst_unused:UNUSED_PAD src0_sel:WORD_1 src1_sel:DWORD
	v_lshrrev_b32_e32 v73, 16, v40
	v_fma_f16 v39, v17, v41, v39
	v_mul_f16_sdwa v41, v17, v41 dst_sel:DWORD dst_unused:UNUSED_PAD src0_sel:WORD_1 src1_sel:DWORD
	v_fma_f16 v17, v17, v72, -v41
	v_mul_f16_sdwa v41, v18, v73 dst_sel:DWORD dst_unused:UNUSED_PAD src0_sel:WORD_1 src1_sel:DWORD
	v_lshrrev_b32_e32 v75, 16, v42
	v_fma_f16 v41, v18, v40, v41
	v_mul_f16_sdwa v40, v18, v40 dst_sel:DWORD dst_unused:UNUSED_PAD src0_sel:WORD_1 src1_sel:DWORD
	v_fma_f16 v18, v18, v73, -v40
	v_mul_f16_sdwa v40, v19, v75 dst_sel:DWORD dst_unused:UNUSED_PAD src0_sel:WORD_1 src1_sel:DWORD
	s_waitcnt lgkmcnt(0)
	v_lshrrev_b32_e32 v76, 16, v71
	v_fma_f16 v40, v19, v42, v40
	v_mul_f16_sdwa v42, v19, v42 dst_sel:DWORD dst_unused:UNUSED_PAD src0_sel:WORD_1 src1_sel:DWORD
	v_fma_f16 v19, v19, v75, -v42
	v_mul_f16_sdwa v42, v20, v76 dst_sel:DWORD dst_unused:UNUSED_PAD src0_sel:WORD_1 src1_sel:DWORD
	v_mul_f16_sdwa v49, v20, v71 dst_sel:DWORD dst_unused:UNUSED_PAD src0_sel:WORD_1 src1_sel:DWORD
	v_add_f16_e32 v50, v77, v32
	v_lshrrev_b32_e32 v44, 16, v9
	v_fma_f16 v42, v20, v71, v42
	v_fma_f16 v20, v20, v76, -v49
	v_add_f16_e32 v49, v9, v77
	v_fma_f16 v9, v50, -0.5, v9
	v_sub_f16_e32 v50, v13, v14
	s_mov_b32 s0, 0xbaee
	s_movk_i32 s1, 0x3aee
	ds_read2_b32 v[37:38], v53 offset0:102 offset1:153
	v_fma_f16 v52, v50, s0, v9
	v_fma_f16 v9, v50, s1, v9
	v_add_f16_e32 v50, v44, v13
	v_add_f16_e32 v13, v13, v14
	;; [unrolled: 1-line block ×3, first 2 shown]
	v_fma_f16 v13, v13, -0.5, v44
	v_sub_f16_e32 v14, v77, v32
	v_add_f16_e32 v44, v33, v35
	v_lshrrev_b32_e32 v51, 16, v10
	v_add_f16_e32 v49, v49, v32
	v_fma_f16 v32, v14, s1, v13
	v_fma_f16 v13, v14, s0, v13
	v_add_f16_e32 v14, v10, v33
	v_fma_f16 v10, v44, -0.5, v10
	v_sub_f16_e32 v44, v11, v12
	v_fma_f16 v66, v44, s0, v10
	v_fma_f16 v10, v44, s1, v10
	v_add_f16_e32 v44, v51, v11
	v_add_f16_e32 v11, v11, v12
	;; [unrolled: 1-line block ×4, first 2 shown]
	v_fma_f16 v11, v11, -0.5, v51
	v_sub_f16_e32 v12, v33, v35
	v_add_f16_e32 v35, v34, v36
	s_waitcnt lgkmcnt(0)
	v_lshrrev_b32_e32 v67, 16, v37
	v_fma_f16 v33, v12, s1, v11
	v_fma_f16 v11, v12, s0, v11
	v_add_f16_e32 v12, v37, v34
	v_fma_f16 v35, v35, -0.5, v37
	v_sub_f16_e32 v37, v15, v16
	v_fma_f16 v51, v37, s0, v35
	v_fma_f16 v35, v37, s1, v35
	v_add_f16_e32 v37, v67, v15
	v_add_f16_e32 v15, v15, v16
	;; [unrolled: 1-line block ×4, first 2 shown]
	v_fma_f16 v15, v15, -0.5, v67
	v_sub_f16_e32 v16, v34, v36
	v_add_f16_e32 v36, v39, v41
	v_lshrrev_b32_e32 v70, 16, v38
	v_fma_f16 v34, v16, s1, v15
	v_fma_f16 v15, v16, s0, v15
	v_add_f16_e32 v16, v38, v39
	v_fma_f16 v36, v36, -0.5, v38
	v_sub_f16_e32 v38, v17, v18
	v_fma_f16 v67, v38, s0, v36
	v_fma_f16 v36, v38, s1, v36
	v_add_f16_e32 v38, v70, v17
	v_add_f16_e32 v17, v17, v18
	;; [unrolled: 1-line block ×4, first 2 shown]
	v_fma_f16 v17, v17, -0.5, v70
	v_sub_f16_e32 v18, v39, v41
	v_add_f16_e32 v41, v40, v42
	v_lshrrev_b32_e32 v74, 16, v31
	v_fma_f16 v39, v18, s1, v17
	v_fma_f16 v17, v18, s0, v17
	v_add_f16_e32 v18, v31, v40
	v_fma_f16 v31, v41, -0.5, v31
	v_sub_f16_e32 v41, v19, v20
	v_fma_f16 v68, v41, s0, v31
	v_fma_f16 v31, v41, s1, v31
	v_add_f16_e32 v41, v74, v19
	v_add_f16_e32 v19, v19, v20
	;; [unrolled: 1-line block ×3, first 2 shown]
	v_fma_f16 v19, v19, -0.5, v74
	v_sub_f16_e32 v20, v40, v42
	v_pack_b32_f16 v9, v9, v13
	v_fma_f16 v40, v20, s1, v19
	v_fma_f16 v19, v20, s0, v19
	s_barrier
	v_pack_b32_f16 v20, v49, v50
	v_pack_b32_f16 v32, v52, v32
	ds_write_b32 v55, v9 offset:136
	v_pack_b32_f16 v9, v14, v44
	v_pack_b32_f16 v13, v66, v33
	ds_write2_b32 v55, v20, v32 offset1:17
	ds_write2_b32 v56, v9, v13 offset1:17
	v_pack_b32_f16 v9, v10, v11
	ds_write_b32 v56, v9 offset:136
	v_pack_b32_f16 v9, v12, v37
	v_pack_b32_f16 v10, v51, v34
	ds_write2_b32 v57, v9, v10 offset1:17
	v_pack_b32_f16 v9, v35, v15
	ds_write_b32 v57, v9 offset:136
	v_pack_b32_f16 v9, v16, v38
	v_pack_b32_f16 v10, v67, v39
	v_add_f16_e32 v18, v18, v42
	ds_write2_b32 v58, v9, v10 offset1:17
	v_pack_b32_f16 v9, v36, v17
	ds_write_b32 v58, v9 offset:136
	v_pack_b32_f16 v9, v18, v41
	v_pack_b32_f16 v10, v68, v40
	ds_write2_b32 v59, v9, v10 offset1:17
	v_pack_b32_f16 v9, v31, v19
	ds_write_b32 v59, v9 offset:136
	s_waitcnt lgkmcnt(0)
	s_barrier
	ds_read2_b32 v[9:10], v53 offset1:51
	ds_read2_b32 v[11:12], v53 offset0:102 offset1:153
	ds_read2_b32 v[13:14], v48 offset0:50 offset1:101
	;; [unrolled: 1-line block ×5, first 2 shown]
	s_waitcnt lgkmcnt(4)
	v_lshrrev_b32_e32 v34, 16, v12
	v_mul_f16_sdwa v56, v0, v34 dst_sel:DWORD dst_unused:UNUSED_PAD src0_sel:WORD_1 src1_sel:DWORD
	s_waitcnt lgkmcnt(3)
	v_lshrrev_b32_e32 v35, 16, v13
	v_fma_f16 v56, v0, v12, v56
	v_mul_f16_sdwa v12, v0, v12 dst_sel:DWORD dst_unused:UNUSED_PAD src0_sel:WORD_1 src1_sel:DWORD
	v_fma_f16 v12, v0, v34, -v12
	v_mul_f16_sdwa v34, v1, v35 dst_sel:DWORD dst_unused:UNUSED_PAD src0_sel:WORD_1 src1_sel:DWORD
	s_waitcnt lgkmcnt(2)
	v_lshrrev_b32_e32 v36, 16, v16
	v_fma_f16 v34, v1, v13, v34
	v_mul_f16_sdwa v13, v1, v13 dst_sel:DWORD dst_unused:UNUSED_PAD src0_sel:WORD_1 src1_sel:DWORD
	v_fma_f16 v13, v1, v35, -v13
	v_mul_f16_sdwa v35, v2, v36 dst_sel:DWORD dst_unused:UNUSED_PAD src0_sel:WORD_1 src1_sel:DWORD
	s_waitcnt lgkmcnt(1)
	v_lshrrev_b32_e32 v37, 16, v17
	v_fma_f16 v35, v2, v16, v35
	v_mul_f16_sdwa v16, v2, v16 dst_sel:DWORD dst_unused:UNUSED_PAD src0_sel:WORD_1 src1_sel:DWORD
	ds_read2_b32 v[31:32], v43 offset0:126 offset1:177
	v_fma_f16 v16, v2, v36, -v16
	v_mul_f16_sdwa v36, v3, v37 dst_sel:DWORD dst_unused:UNUSED_PAD src0_sel:WORD_1 src1_sel:DWORD
	s_waitcnt lgkmcnt(1)
	v_lshrrev_b32_e32 v39, 16, v19
	v_fma_f16 v36, v3, v17, v36
	v_mul_f16_sdwa v17, v3, v17 dst_sel:DWORD dst_unused:UNUSED_PAD src0_sel:WORD_1 src1_sel:DWORD
	v_fma_f16 v17, v3, v37, -v17
	v_mul_f16_sdwa v37, v0, v39 dst_sel:DWORD dst_unused:UNUSED_PAD src0_sel:WORD_1 src1_sel:DWORD
	v_lshrrev_b32_e32 v40, 16, v14
	v_fma_f16 v37, v0, v19, v37
	v_mul_f16_sdwa v19, v0, v19 dst_sel:DWORD dst_unused:UNUSED_PAD src0_sel:WORD_1 src1_sel:DWORD
	v_fma_f16 v0, v0, v39, -v19
	v_mul_f16_sdwa v19, v1, v40 dst_sel:DWORD dst_unused:UNUSED_PAD src0_sel:WORD_1 src1_sel:DWORD
	s_waitcnt lgkmcnt(0)
	v_lshrrev_b32_e32 v41, 16, v31
	v_fma_f16 v19, v1, v14, v19
	v_mul_f16_sdwa v14, v1, v14 dst_sel:DWORD dst_unused:UNUSED_PAD src0_sel:WORD_1 src1_sel:DWORD
	v_fma_f16 v1, v1, v40, -v14
	v_mul_f16_sdwa v14, v2, v41 dst_sel:DWORD dst_unused:UNUSED_PAD src0_sel:WORD_1 src1_sel:DWORD
	v_lshrrev_b32_e32 v42, 16, v18
	v_fma_f16 v14, v2, v31, v14
	v_mul_f16_sdwa v31, v2, v31 dst_sel:DWORD dst_unused:UNUSED_PAD src0_sel:WORD_1 src1_sel:DWORD
	v_fma_f16 v2, v2, v41, -v31
	v_mul_f16_sdwa v31, v3, v42 dst_sel:DWORD dst_unused:UNUSED_PAD src0_sel:WORD_1 src1_sel:DWORD
	v_lshrrev_b32_e32 v50, 16, v20
	v_fma_f16 v31, v3, v18, v31
	v_mul_f16_sdwa v18, v3, v18 dst_sel:DWORD dst_unused:UNUSED_PAD src0_sel:WORD_1 src1_sel:DWORD
	ds_read_b32 v44, v53 offset:2856
	v_fma_f16 v3, v3, v42, -v18
	v_mul_f16_sdwa v18, v4, v50 dst_sel:DWORD dst_unused:UNUSED_PAD src0_sel:WORD_1 src1_sel:DWORD
	v_lshrrev_b32_e32 v51, 16, v15
	v_fma_f16 v18, v4, v20, v18
	v_mul_f16_sdwa v20, v4, v20 dst_sel:DWORD dst_unused:UNUSED_PAD src0_sel:WORD_1 src1_sel:DWORD
	v_fma_f16 v4, v4, v50, -v20
	v_mul_f16_sdwa v20, v5, v51 dst_sel:DWORD dst_unused:UNUSED_PAD src0_sel:WORD_1 src1_sel:DWORD
	v_lshrrev_b32_e32 v52, 16, v32
	v_fma_f16 v20, v5, v15, v20
	v_mul_f16_sdwa v15, v5, v15 dst_sel:DWORD dst_unused:UNUSED_PAD src0_sel:WORD_1 src1_sel:DWORD
	v_fma_f16 v5, v5, v51, -v15
	v_mul_f16_sdwa v15, v6, v52 dst_sel:DWORD dst_unused:UNUSED_PAD src0_sel:WORD_1 src1_sel:DWORD
	s_waitcnt lgkmcnt(0)
	v_lshrrev_b32_e32 v55, 16, v44
	v_fma_f16 v15, v6, v32, v15
	v_mul_f16_sdwa v32, v6, v32 dst_sel:DWORD dst_unused:UNUSED_PAD src0_sel:WORD_1 src1_sel:DWORD
	v_add_f16_e32 v40, v34, v35
	v_fma_f16 v6, v6, v52, -v32
	v_mul_f16_sdwa v32, v7, v55 dst_sel:DWORD dst_unused:UNUSED_PAD src0_sel:WORD_1 src1_sel:DWORD
	v_fma_f16 v40, v40, -0.5, v9
	v_sub_f16_e32 v41, v12, v17
	s_mov_b32 s2, 0xbb9c
	s_movk_i32 s5, 0x3b9c
	v_fma_f16 v32, v7, v44, v32
	v_mul_f16_sdwa v39, v7, v44 dst_sel:DWORD dst_unused:UNUSED_PAD src0_sel:WORD_1 src1_sel:DWORD
	v_fma_f16 v42, v41, s2, v40
	v_sub_f16_e32 v44, v13, v16
	s_mov_b32 s3, 0xb8b4
	v_sub_f16_e32 v50, v56, v34
	v_sub_f16_e32 v51, v36, v35
	v_fma_f16 v40, v41, s5, v40
	s_movk_i32 s14, 0x38b4
	v_fma_f16 v42, v44, s3, v42
	v_add_f16_e32 v50, v50, v51
	s_movk_i32 s4, 0x34f2
	v_fma_f16 v40, v44, s14, v40
	v_fma_f16 v7, v7, v55, -v39
	v_add_f16_e32 v39, v9, v56
	v_fma_f16 v42, v50, s4, v42
	v_fma_f16 v40, v50, s4, v40
	v_add_f16_e32 v50, v56, v36
	v_lshrrev_b32_e32 v33, 16, v9
	v_add_f16_e32 v39, v39, v34
	v_fma_f16 v9, v50, -0.5, v9
	v_add_f16_e32 v39, v39, v35
	v_fma_f16 v50, v44, s5, v9
	v_sub_f16_e32 v51, v34, v56
	v_sub_f16_e32 v52, v35, v36
	v_fma_f16 v9, v44, s2, v9
	v_add_f16_e32 v44, v13, v16
	v_add_f16_e32 v39, v39, v36
	v_fma_f16 v50, v41, s3, v50
	v_add_f16_e32 v51, v51, v52
	v_fma_f16 v9, v41, s14, v9
	v_fma_f16 v44, v44, -0.5, v33
	v_sub_f16_e32 v36, v56, v36
	v_fma_f16 v50, v51, s4, v50
	v_fma_f16 v9, v51, s4, v9
	;; [unrolled: 1-line block ×3, first 2 shown]
	v_sub_f16_e32 v34, v34, v35
	v_fma_f16 v35, v34, s14, v51
	v_sub_f16_e32 v51, v12, v13
	v_sub_f16_e32 v52, v17, v16
	v_fma_f16 v44, v36, s2, v44
	v_add_f16_e32 v41, v33, v12
	v_add_f16_e32 v51, v51, v52
	v_fma_f16 v44, v34, s3, v44
	v_add_f16_e32 v41, v41, v13
	v_fma_f16 v35, v51, s4, v35
	v_fma_f16 v44, v51, s4, v44
	v_add_f16_e32 v51, v12, v17
	v_add_f16_e32 v41, v41, v16
	v_fma_f16 v33, v51, -0.5, v33
	v_add_f16_e32 v41, v41, v17
	v_fma_f16 v51, v34, s2, v33
	v_sub_f16_e32 v12, v13, v12
	v_sub_f16_e32 v13, v16, v17
	v_add_f16_e32 v17, v19, v14
	v_fma_f16 v51, v36, s14, v51
	v_add_f16_e32 v12, v12, v13
	v_fma_f16 v16, v34, s5, v33
	v_fma_f16 v17, v17, -0.5, v10
	v_sub_f16_e32 v33, v0, v3
	v_fma_f16 v13, v12, s4, v51
	v_fma_f16 v16, v36, s3, v16
	;; [unrolled: 1-line block ×3, first 2 shown]
	v_sub_f16_e32 v36, v1, v2
	v_sub_f16_e32 v51, v37, v19
	;; [unrolled: 1-line block ×3, first 2 shown]
	v_fma_f16 v17, v33, s5, v17
	v_fma_f16 v34, v36, s3, v34
	v_add_f16_e32 v51, v51, v52
	v_fma_f16 v17, v36, s14, v17
	v_fma_f16 v12, v12, s4, v16
	v_add_f16_e32 v16, v10, v37
	;; [unrolled: 3-line block ×3, first 2 shown]
	v_lshrrev_b32_e32 v38, 16, v10
	v_add_f16_e32 v16, v16, v19
	v_fma_f16 v10, v51, -0.5, v10
	v_add_f16_e32 v16, v16, v14
	v_fma_f16 v51, v36, s5, v10
	v_fma_f16 v10, v36, s2, v10
	v_add_f16_e32 v36, v1, v2
	v_add_f16_e32 v16, v16, v31
	v_sub_f16_e32 v52, v19, v37
	v_sub_f16_e32 v55, v14, v31
	v_fma_f16 v36, v36, -0.5, v38
	v_sub_f16_e32 v31, v37, v31
	v_fma_f16 v51, v33, s3, v51
	v_add_f16_e32 v52, v52, v55
	v_fma_f16 v10, v33, s14, v10
	v_fma_f16 v37, v31, s5, v36
	v_sub_f16_e32 v14, v19, v14
	v_fma_f16 v51, v52, s4, v51
	v_fma_f16 v10, v52, s4, v10
	;; [unrolled: 1-line block ×3, first 2 shown]
	v_sub_f16_e32 v37, v0, v1
	v_sub_f16_e32 v52, v3, v2
	v_fma_f16 v36, v31, s2, v36
	v_add_f16_e32 v33, v38, v0
	v_add_f16_e32 v37, v37, v52
	v_fma_f16 v36, v14, s3, v36
	v_add_f16_e32 v33, v33, v1
	v_fma_f16 v19, v37, s4, v19
	v_fma_f16 v36, v37, s4, v36
	v_add_f16_e32 v37, v0, v3
	v_add_f16_e32 v33, v33, v2
	v_fma_f16 v37, v37, -0.5, v38
	v_add_f16_e32 v33, v33, v3
	v_fma_f16 v38, v14, s2, v37
	v_sub_f16_e32 v0, v1, v0
	v_sub_f16_e32 v1, v2, v3
	v_add_f16_e32 v3, v20, v15
	v_fma_f16 v38, v31, s14, v38
	v_add_f16_e32 v0, v0, v1
	v_fma_f16 v2, v14, s5, v37
	v_fma_f16 v3, v3, -0.5, v11
	v_sub_f16_e32 v14, v4, v7
	v_fma_f16 v1, v0, s4, v38
	v_fma_f16 v2, v31, s3, v2
	;; [unrolled: 1-line block ×3, first 2 shown]
	v_sub_f16_e32 v37, v5, v6
	v_sub_f16_e32 v38, v18, v20
	;; [unrolled: 1-line block ×3, first 2 shown]
	v_fma_f16 v3, v14, s5, v3
	v_fma_f16 v31, v37, s3, v31
	v_add_f16_e32 v38, v38, v52
	v_fma_f16 v3, v37, s14, v3
	v_fma_f16 v31, v38, s4, v31
	;; [unrolled: 1-line block ×3, first 2 shown]
	v_add_f16_e32 v38, v18, v32
	v_lshrrev_b32_e32 v49, 16, v11
	v_fma_f16 v0, v0, s4, v2
	v_add_f16_e32 v2, v11, v18
	v_fma_f16 v11, v38, -0.5, v11
	v_add_f16_e32 v2, v2, v20
	v_fma_f16 v38, v37, s5, v11
	v_fma_f16 v11, v37, s2, v11
	v_add_f16_e32 v37, v5, v6
	v_add_f16_e32 v2, v2, v15
	v_sub_f16_e32 v52, v20, v18
	v_sub_f16_e32 v55, v15, v32
	v_fma_f16 v37, v37, -0.5, v49
	v_sub_f16_e32 v18, v18, v32
	v_add_f16_e32 v2, v2, v32
	v_fma_f16 v38, v14, s3, v38
	v_add_f16_e32 v52, v52, v55
	v_fma_f16 v11, v14, s14, v11
	v_fma_f16 v32, v18, s5, v37
	v_sub_f16_e32 v15, v20, v15
	v_fma_f16 v38, v52, s4, v38
	v_fma_f16 v11, v52, s4, v11
	;; [unrolled: 1-line block ×3, first 2 shown]
	v_sub_f16_e32 v32, v4, v5
	v_sub_f16_e32 v52, v7, v6
	v_fma_f16 v37, v18, s2, v37
	v_add_f16_e32 v32, v32, v52
	v_fma_f16 v37, v15, s3, v37
	v_add_f16_e32 v14, v49, v4
	v_fma_f16 v20, v32, s4, v20
	v_fma_f16 v32, v32, s4, v37
	v_add_f16_e32 v37, v4, v7
	v_add_f16_e32 v14, v14, v5
	v_fma_f16 v37, v37, -0.5, v49
	v_add_f16_e32 v14, v14, v6
	v_fma_f16 v49, v15, s2, v37
	v_sub_f16_e32 v4, v5, v4
	v_sub_f16_e32 v5, v6, v7
	v_fma_f16 v6, v15, s5, v37
	v_fma_f16 v49, v18, s14, v49
	v_add_f16_e32 v4, v4, v5
	v_fma_f16 v6, v18, s3, v6
	v_add_f16_e32 v14, v14, v7
	v_fma_f16 v5, v4, s4, v49
	v_fma_f16 v4, v4, s4, v6
	v_pack_b32_f16 v6, v39, v41
	v_pack_b32_f16 v7, v42, v35
	s_barrier
	ds_write2_b32 v53, v6, v7 offset1:51
	v_pack_b32_f16 v6, v50, v13
	v_pack_b32_f16 v7, v9, v12
	ds_write2_b32 v53, v6, v7 offset0:102 offset1:153
	v_pack_b32_f16 v6, v40, v44
	v_pack_b32_f16 v7, v16, v33
	ds_write2_b32 v53, v6, v7 offset0:204 offset1:255
	;; [unrolled: 3-line block ×4, first 2 shown]
	v_pack_b32_f16 v0, v2, v14
	v_pack_b32_f16 v1, v31, v20
	v_add_u32_e32 v2, 0x600, v60
	ds_write2_b32 v2, v0, v1 offset0:126 offset1:177
	v_pack_b32_f16 v0, v38, v5
	v_pack_b32_f16 v1, v11, v4
	v_add_u32_e32 v2, 0x800, v60
	ds_write2_b32 v2, v0, v1 offset0:100 offset1:151
	v_pack_b32_f16 v0, v3, v32
	ds_write_b32 v60, v0 offset:2856
	s_waitcnt lgkmcnt(0)
	s_barrier
	ds_read2_b32 v[0:1], v53 offset1:51
	ds_read2_b32 v[2:3], v53 offset0:204 offset1:255
	ds_read2_b32 v[4:5], v43 offset0:126 offset1:177
	;; [unrolled: 1-line block ×5, first 2 shown]
	s_waitcnt lgkmcnt(4)
	v_lshrrev_b32_e32 v16, 16, v3
	v_mul_f16_sdwa v41, v21, v16 dst_sel:DWORD dst_unused:UNUSED_PAD src0_sel:WORD_1 src1_sel:DWORD
	s_waitcnt lgkmcnt(3)
	v_lshrrev_b32_e32 v17, 16, v4
	v_fma_f16 v41, v21, v3, v41
	v_mul_f16_sdwa v3, v21, v3 dst_sel:DWORD dst_unused:UNUSED_PAD src0_sel:WORD_1 src1_sel:DWORD
	v_fma_f16 v3, v21, v16, -v3
	v_mul_f16_sdwa v16, v22, v17 dst_sel:DWORD dst_unused:UNUSED_PAD src0_sel:WORD_1 src1_sel:DWORD
	s_waitcnt lgkmcnt(2)
	v_lshrrev_b32_e32 v19, 16, v6
	v_fma_f16 v16, v22, v4, v16
	v_mul_f16_sdwa v4, v22, v4 dst_sel:DWORD dst_unused:UNUSED_PAD src0_sel:WORD_1 src1_sel:DWORD
	v_fma_f16 v4, v22, v17, -v4
	v_mul_f16_sdwa v17, v23, v19 dst_sel:DWORD dst_unused:UNUSED_PAD src0_sel:WORD_1 src1_sel:DWORD
	v_lshrrev_b32_e32 v20, 16, v5
	s_waitcnt lgkmcnt(1)
	v_lshrrev_b32_e32 v37, 16, v12
	v_fma_f16 v17, v23, v6, v17
	v_mul_f16_sdwa v6, v23, v6 dst_sel:DWORD dst_unused:UNUSED_PAD src0_sel:WORD_1 src1_sel:DWORD
	ds_read_b32 v35, v53 offset:2856
	s_waitcnt lgkmcnt(1)
	v_lshrrev_b32_e32 v36, 16, v13
	v_fma_f16 v6, v23, v19, -v6
	v_mul_f16_sdwa v19, v24, v20 dst_sel:DWORD dst_unused:UNUSED_PAD src0_sel:WORD_1 src1_sel:DWORD
	v_mul_f16_sdwa v23, v28, v37 dst_sel:DWORD dst_unused:UNUSED_PAD src0_sel:WORD_1 src1_sel:DWORD
	v_lshrrev_b32_e32 v39, 16, v14
	v_fma_f16 v19, v24, v5, v19
	v_mul_f16_sdwa v5, v24, v5 dst_sel:DWORD dst_unused:UNUSED_PAD src0_sel:WORD_1 src1_sel:DWORD
	v_mul_f16_sdwa v22, v27, v36 dst_sel:DWORD dst_unused:UNUSED_PAD src0_sel:WORD_1 src1_sel:DWORD
	v_fma_f16 v23, v28, v12, v23
	v_mul_f16_sdwa v12, v28, v12 dst_sel:DWORD dst_unused:UNUSED_PAD src0_sel:WORD_1 src1_sel:DWORD
	v_fma_f16 v5, v24, v20, -v5
	v_fma_f16 v22, v27, v13, v22
	v_mul_f16_sdwa v13, v27, v13 dst_sel:DWORD dst_unused:UNUSED_PAD src0_sel:WORD_1 src1_sel:DWORD
	v_fma_f16 v12, v28, v37, -v12
	v_mul_f16_sdwa v24, v29, v39 dst_sel:DWORD dst_unused:UNUSED_PAD src0_sel:WORD_1 src1_sel:DWORD
	v_add_f16_e32 v28, v41, v16
	v_lshrrev_b32_e32 v15, 16, v0
	v_lshrrev_b32_e32 v32, 16, v7
	;; [unrolled: 1-line block ×3, first 2 shown]
	v_fma_f16 v13, v27, v36, -v13
	v_fma_f16 v24, v29, v14, v24
	v_mul_f16_sdwa v14, v29, v14 dst_sel:DWORD dst_unused:UNUSED_PAD src0_sel:WORD_1 src1_sel:DWORD
	v_add_f16_e32 v27, v0, v41
	v_fma_f16 v0, v28, -0.5, v0
	v_sub_f16_e32 v28, v3, v4
	v_mul_f16_sdwa v20, v25, v32 dst_sel:DWORD dst_unused:UNUSED_PAD src0_sel:WORD_1 src1_sel:DWORD
	v_mul_f16_sdwa v21, v26, v33 dst_sel:DWORD dst_unused:UNUSED_PAD src0_sel:WORD_1 src1_sel:DWORD
	v_fma_f16 v14, v29, v39, -v14
	v_fma_f16 v29, v28, s0, v0
	v_fma_f16 v0, v28, s1, v0
	v_add_f16_e32 v28, v15, v3
	v_add_f16_e32 v3, v3, v4
	ds_read2_b32 v[9:10], v53 offset0:102 offset1:153
	s_waitcnt lgkmcnt(1)
	v_lshrrev_b32_e32 v40, 16, v35
	v_fma_f16 v20, v25, v7, v20
	v_mul_f16_sdwa v7, v25, v7 dst_sel:DWORD dst_unused:UNUSED_PAD src0_sel:WORD_1 src1_sel:DWORD
	v_fma_f16 v21, v26, v11, v21
	v_mul_f16_sdwa v11, v26, v11 dst_sel:DWORD dst_unused:UNUSED_PAD src0_sel:WORD_1 src1_sel:DWORD
	v_add_f16_e32 v27, v27, v16
	v_add_f16_e32 v28, v28, v4
	v_fma_f16 v3, v3, -0.5, v15
	v_sub_f16_e32 v4, v41, v16
	v_add_f16_e32 v16, v17, v19
	v_lshrrev_b32_e32 v18, 16, v1
	v_fma_f16 v7, v25, v32, -v7
	v_fma_f16 v11, v26, v33, -v11
	v_mul_f16_sdwa v25, v30, v40 dst_sel:DWORD dst_unused:UNUSED_PAD src0_sel:WORD_1 src1_sel:DWORD
	v_mul_f16_sdwa v26, v30, v35 dst_sel:DWORD dst_unused:UNUSED_PAD src0_sel:WORD_1 src1_sel:DWORD
	v_fma_f16 v15, v4, s1, v3
	v_fma_f16 v3, v4, s0, v3
	v_add_f16_e32 v4, v1, v17
	v_fma_f16 v1, v16, -0.5, v1
	v_sub_f16_e32 v16, v6, v5
	v_fma_f16 v25, v30, v35, v25
	v_fma_f16 v26, v30, v40, -v26
	v_fma_f16 v30, v16, s0, v1
	v_fma_f16 v1, v16, s1, v1
	v_add_f16_e32 v16, v18, v6
	v_add_f16_e32 v16, v16, v5
	;; [unrolled: 1-line block ×3, first 2 shown]
	v_fma_f16 v5, v5, -0.5, v18
	v_sub_f16_e32 v6, v17, v19
	v_add_f16_e32 v18, v20, v21
	s_waitcnt lgkmcnt(0)
	v_lshrrev_b32_e32 v31, 16, v9
	v_fma_f16 v17, v6, s1, v5
	v_fma_f16 v5, v6, s0, v5
	v_add_f16_e32 v6, v9, v20
	v_fma_f16 v9, v18, -0.5, v9
	v_sub_f16_e32 v18, v7, v11
	v_add_f16_e32 v4, v4, v19
	v_fma_f16 v19, v18, s0, v9
	v_fma_f16 v9, v18, s1, v9
	v_add_f16_e32 v18, v31, v7
	v_add_f16_e32 v7, v7, v11
	;; [unrolled: 1-line block ×4, first 2 shown]
	v_fma_f16 v7, v7, -0.5, v31
	v_sub_f16_e32 v11, v20, v21
	v_add_f16_e32 v21, v22, v23
	v_lshrrev_b32_e32 v34, 16, v10
	v_fma_f16 v20, v11, s1, v7
	v_fma_f16 v7, v11, s0, v7
	v_add_f16_e32 v11, v10, v22
	v_fma_f16 v10, v21, -0.5, v10
	v_sub_f16_e32 v21, v13, v12
	v_fma_f16 v31, v21, s0, v10
	v_fma_f16 v10, v21, s1, v10
	v_add_f16_e32 v21, v34, v13
	v_add_f16_e32 v21, v21, v12
	;; [unrolled: 1-line block ×4, first 2 shown]
	v_fma_f16 v12, v12, -0.5, v34
	v_sub_f16_e32 v13, v22, v23
	v_add_f16_e32 v23, v24, v25
	v_lshrrev_b32_e32 v38, 16, v2
	v_fma_f16 v22, v13, s1, v12
	v_fma_f16 v12, v13, s0, v12
	v_add_f16_e32 v13, v2, v24
	v_fma_f16 v2, v23, -0.5, v2
	v_sub_f16_e32 v23, v14, v26
	v_fma_f16 v32, v23, s0, v2
	v_fma_f16 v2, v23, s1, v2
	v_add_f16_e32 v23, v38, v14
	v_add_f16_e32 v14, v14, v26
	v_fma_f16 v14, v14, -0.5, v38
	v_sub_f16_e32 v24, v24, v25
	v_add_f16_e32 v13, v13, v25
	v_fma_f16 v25, v24, s1, v14
	v_fma_f16 v14, v24, s0, v14
	v_pack_b32_f16 v24, v27, v28
	v_pack_b32_f16 v0, v0, v3
	;; [unrolled: 1-line block ×4, first 2 shown]
	ds_write2_b32 v61, v24, v3 offset1:51
	v_pack_b32_f16 v3, v30, v17
	v_add_u32_e32 v4, 0x200, v61
	ds_write2_b32 v4, v15, v3 offset0:127 offset1:178
	v_pack_b32_f16 v1, v1, v5
	v_add_u32_e32 v3, 0x600, v61
	ds_write2_b32 v3, v0, v1 offset0:126 offset1:177
	v_pack_b32_f16 v0, v6, v18
	ds_write_b32 v61, v0 offset:408
	v_pack_b32_f16 v0, v19, v20
	v_pack_b32_f16 v1, v9, v7
	v_add_u32_e32 v3, 0x3fc, v64
	ds_write2_b32 v3, v0, v1 offset1:255
	v_pack_b32_f16 v0, v11, v21
	v_add_f16_e32 v23, v23, v26
	ds_write_b32 v61, v0 offset:612
	v_pack_b32_f16 v0, v31, v22
	v_pack_b32_f16 v1, v10, v12
	v_add_u32_e32 v3, 0x3fc, v63
	ds_write2_b32 v3, v0, v1 offset1:255
	v_pack_b32_f16 v0, v13, v23
	ds_write_b32 v61, v0 offset:816
	v_pack_b32_f16 v0, v32, v25
	v_pack_b32_f16 v1, v2, v14
	v_add_u32_e32 v2, 0x3fc, v62
	ds_write2_b32 v2, v0, v1 offset1:255
	s_waitcnt lgkmcnt(0)
	s_barrier
	s_and_b64 exec, exec, vcc
	s_cbranch_execz .LBB0_15
; %bb.14:
	global_load_dword v9, v45, s[6:7]
	v_mad_u64_u32 v[1:2], s[0:1], s10, v8, 0
	v_mad_u64_u32 v[3:4], s[0:1], s8, v47, 0
	ds_read_b32 v10, v61
	s_mov_b32 s14, 0x156ac015
	v_mad_u64_u32 v[5:6], s[0:1], s11, v8, v[2:3]
	s_mov_b32 s15, 0x3f556ac0
	v_mov_b32_e32 v11, s13
	v_mad_u64_u32 v[6:7], s[0:1], s9, v47, v[4:5]
	s_waitcnt lgkmcnt(0)
	v_lshrrev_b32_e32 v7, 16, v10
	v_mov_b32_e32 v2, v5
	v_mov_b32_e32 v4, v6
	v_lshlrev_b64 v[1:2], 2, v[1:2]
	v_lshlrev_b64 v[3:4], 2, v[3:4]
	s_movk_i32 s16, 0x1ff
	s_movk_i32 s10, 0xffe
	v_mov_b32_e32 v0, 0x7c00
	s_movk_i32 s18, 0x40f
	s_mov_b32 s17, 0x8000
	s_waitcnt vmcnt(0)
	v_mul_f16_sdwa v5, v7, v9 dst_sel:DWORD dst_unused:UNUSED_PAD src0_sel:DWORD src1_sel:WORD_1
	v_fma_f16 v5, v10, v9, v5
	v_mul_f16_sdwa v6, v10, v9 dst_sel:DWORD dst_unused:UNUSED_PAD src0_sel:DWORD src1_sel:WORD_1
	v_cvt_f32_f16_e32 v5, v5
	v_fma_f16 v6, v9, v7, -v6
	v_cvt_f32_f16_e32 v7, v6
	v_add_co_u32_e32 v9, vcc, s12, v1
	v_cvt_f64_f32_e32 v[5:6], v5
	v_cvt_f64_f32_e32 v[7:8], v7
	v_addc_co_u32_e32 v10, vcc, v11, v2, vcc
	v_mul_f64 v[5:6], v[5:6], s[14:15]
	v_mul_f64 v[1:2], v[7:8], s[14:15]
	v_add_co_u32_e32 v3, vcc, v9, v3
	v_addc_co_u32_e32 v4, vcc, v10, v4, vcc
	v_and_or_b32 v5, v6, s16, v5
	v_and_or_b32 v1, v2, s16, v1
	v_cmp_ne_u32_e32 vcc, 0, v5
	v_lshrrev_b32_e32 v7, 8, v6
	v_bfe_u32 v8, v6, 20, 11
	v_cndmask_b32_e64 v5, 0, 1, vcc
	v_cmp_ne_u32_e32 vcc, 0, v1
	v_lshrrev_b32_e32 v9, 8, v2
	v_bfe_u32 v10, v2, 20, 11
	v_sub_u32_e32 v11, 0x3f1, v8
	v_cndmask_b32_e64 v1, 0, 1, vcc
	v_and_or_b32 v5, v7, s10, v5
	v_sub_u32_e32 v12, 0x3f1, v10
	v_med3_i32 v7, v11, 0, 13
	v_and_or_b32 v1, v9, s10, v1
	v_or_b32_e32 v11, 0x1000, v5
	v_add_u32_e32 v8, 0xfffffc10, v8
	v_med3_i32 v9, v12, 0, 13
	v_cmp_ne_u32_e32 vcc, 0, v5
	v_or_b32_e32 v13, 0x1000, v1
	v_lshrrev_b32_e32 v15, v7, v11
	v_add_u32_e32 v10, 0xfffffc10, v10
	v_lshl_or_b32 v12, v8, 12, v5
	v_cndmask_b32_e64 v5, 0, 1, vcc
	v_cmp_ne_u32_e32 vcc, 0, v1
	v_lshrrev_b32_e32 v16, v9, v13
	v_lshlrev_b32_e32 v7, v7, v15
	v_lshl_or_b32 v14, v10, 12, v1
	v_cndmask_b32_e64 v1, 0, 1, vcc
	v_lshlrev_b32_e32 v9, v9, v16
	v_cmp_ne_u32_e32 vcc, v7, v11
	v_cndmask_b32_e64 v7, 0, 1, vcc
	v_cmp_ne_u32_e32 vcc, v9, v13
	v_cndmask_b32_e64 v9, 0, 1, vcc
	v_or_b32_e32 v7, v15, v7
	v_cmp_gt_i32_e32 vcc, 1, v8
	v_cndmask_b32_e32 v7, v12, v7, vcc
	v_or_b32_e32 v9, v16, v9
	v_cmp_gt_i32_e32 vcc, 1, v10
	v_and_b32_e32 v11, 7, v7
	v_cndmask_b32_e32 v9, v14, v9, vcc
	v_cmp_lt_i32_e32 vcc, 5, v11
	v_cmp_eq_u32_e64 s[0:1], 3, v11
	v_lshrrev_b32_e32 v7, 2, v7
	v_and_b32_e32 v12, 7, v9
	s_or_b64 vcc, s[0:1], vcc
	v_cmp_lt_i32_e64 s[2:3], 5, v12
	v_cmp_eq_u32_e64 s[4:5], 3, v12
	v_addc_co_u32_e32 v7, vcc, 0, v7, vcc
	v_lshrrev_b32_e32 v9, 2, v9
	s_or_b64 vcc, s[4:5], s[2:3]
	v_addc_co_u32_e32 v9, vcc, 0, v9, vcc
	v_cmp_gt_i32_e32 vcc, 31, v8
	v_cndmask_b32_e32 v7, v0, v7, vcc
	v_cmp_gt_i32_e32 vcc, 31, v10
	v_lshl_or_b32 v5, v5, 9, v0
	v_cndmask_b32_e32 v9, v0, v9, vcc
	v_cmp_eq_u32_e32 vcc, s18, v8
	v_lshrrev_b32_e32 v6, 16, v6
	v_lshl_or_b32 v1, v1, 9, v0
	v_cndmask_b32_e32 v5, v7, v5, vcc
	v_cmp_eq_u32_e32 vcc, s18, v10
	v_lshrrev_b32_e32 v2, 16, v2
	v_cndmask_b32_e32 v1, v9, v1, vcc
	v_and_or_b32 v5, v6, s17, v5
	v_and_or_b32 v1, v2, s17, v1
	v_and_b32_e32 v2, 0xffff, v5
	v_lshl_or_b32 v1, v1, 16, v2
	global_store_dword v[3:4], v1, off
	global_load_dword v2, v45, s[6:7] offset:180
	v_lshl_add_u32 v1, v46, 2, v54
	ds_read2_b32 v[5:6], v1 offset0:45 offset1:90
	s_mul_i32 s0, s9, 0xb4
	s_mul_hi_u32 s9, s8, 0xb4
	s_mulk_i32 s8, 0xb4
	s_add_i32 s9, s9, s0
	s_waitcnt lgkmcnt(0)
	v_lshrrev_b32_e32 v7, 16, v5
	s_waitcnt vmcnt(0)
	v_mul_f16_sdwa v8, v7, v2 dst_sel:DWORD dst_unused:UNUSED_PAD src0_sel:DWORD src1_sel:WORD_1
	v_fma_f16 v8, v5, v2, v8
	v_mul_f16_sdwa v5, v5, v2 dst_sel:DWORD dst_unused:UNUSED_PAD src0_sel:DWORD src1_sel:WORD_1
	v_cvt_f32_f16_e32 v8, v8
	v_fma_f16 v2, v2, v7, -v5
	v_cvt_f32_f16_e32 v2, v2
	v_mov_b32_e32 v5, s9
	v_cvt_f64_f32_e32 v[7:8], v8
	v_cvt_f64_f32_e32 v[9:10], v2
	v_add_co_u32_e32 v2, vcc, s8, v3
	v_mul_f64 v[7:8], v[7:8], s[14:15]
	v_mul_f64 v[9:10], v[9:10], s[14:15]
	v_addc_co_u32_e32 v3, vcc, v4, v5, vcc
	v_and_or_b32 v4, v8, s16, v7
	v_and_or_b32 v9, v10, s16, v9
	v_cmp_ne_u32_e32 vcc, 0, v4
	v_lshrrev_b32_e32 v5, 8, v8
	v_bfe_u32 v7, v8, 20, 11
	v_cndmask_b32_e64 v4, 0, 1, vcc
	v_cmp_ne_u32_e32 vcc, 0, v9
	v_lshrrev_b32_e32 v11, 8, v10
	v_bfe_u32 v12, v10, 20, 11
	v_sub_u32_e32 v13, 0x3f1, v7
	v_cndmask_b32_e64 v9, 0, 1, vcc
	v_and_or_b32 v4, v5, s10, v4
	v_sub_u32_e32 v14, 0x3f1, v12
	v_med3_i32 v5, v13, 0, 13
	v_and_or_b32 v9, v11, s10, v9
	v_or_b32_e32 v13, 0x1000, v4
	v_add_u32_e32 v7, 0xfffffc10, v7
	v_med3_i32 v11, v14, 0, 13
	v_cmp_ne_u32_e32 vcc, 0, v4
	v_or_b32_e32 v15, 0x1000, v9
	v_lshrrev_b32_e32 v17, v5, v13
	v_add_u32_e32 v12, 0xfffffc10, v12
	v_lshl_or_b32 v14, v7, 12, v4
	v_cndmask_b32_e64 v4, 0, 1, vcc
	v_cmp_ne_u32_e32 vcc, 0, v9
	v_lshrrev_b32_e32 v18, v11, v15
	v_lshlrev_b32_e32 v5, v5, v17
	v_lshl_or_b32 v16, v12, 12, v9
	v_cndmask_b32_e64 v9, 0, 1, vcc
	v_lshlrev_b32_e32 v11, v11, v18
	v_cmp_ne_u32_e32 vcc, v5, v13
	v_cndmask_b32_e64 v5, 0, 1, vcc
	v_cmp_ne_u32_e32 vcc, v11, v15
	v_cndmask_b32_e64 v11, 0, 1, vcc
	v_or_b32_e32 v5, v17, v5
	v_cmp_gt_i32_e32 vcc, 1, v7
	v_cndmask_b32_e32 v5, v14, v5, vcc
	v_or_b32_e32 v11, v18, v11
	v_cmp_gt_i32_e32 vcc, 1, v12
	v_and_b32_e32 v13, 7, v5
	v_cndmask_b32_e32 v11, v16, v11, vcc
	v_cmp_lt_i32_e32 vcc, 5, v13
	v_cmp_eq_u32_e64 s[0:1], 3, v13
	v_lshrrev_b32_e32 v5, 2, v5
	v_and_b32_e32 v14, 7, v11
	s_or_b64 vcc, s[0:1], vcc
	v_cmp_lt_i32_e64 s[2:3], 5, v14
	v_cmp_eq_u32_e64 s[4:5], 3, v14
	v_addc_co_u32_e32 v5, vcc, 0, v5, vcc
	v_lshrrev_b32_e32 v11, 2, v11
	s_or_b64 vcc, s[4:5], s[2:3]
	v_addc_co_u32_e32 v11, vcc, 0, v11, vcc
	v_cmp_gt_i32_e32 vcc, 31, v7
	v_cndmask_b32_e32 v5, v0, v5, vcc
	v_cmp_gt_i32_e32 vcc, 31, v12
	v_lshl_or_b32 v4, v4, 9, v0
	v_cndmask_b32_e32 v11, v0, v11, vcc
	v_cmp_eq_u32_e32 vcc, s18, v7
	v_lshrrev_b32_e32 v8, 16, v8
	v_lshl_or_b32 v9, v9, 9, v0
	v_cndmask_b32_e32 v4, v5, v4, vcc
	v_cmp_eq_u32_e32 vcc, s18, v12
	v_lshrrev_b32_e32 v10, 16, v10
	v_cndmask_b32_e32 v5, v11, v9, vcc
	v_and_or_b32 v4, v8, s17, v4
	v_and_or_b32 v5, v10, s17, v5
	v_and_b32_e32 v4, 0xffff, v4
	v_lshl_or_b32 v4, v5, 16, v4
	global_store_dword v[2:3], v4, off
	global_load_dword v4, v45, s[6:7] offset:360
	v_lshrrev_b32_e32 v5, 16, v6
	v_mov_b32_e32 v8, s9
	v_add_co_u32_e32 v2, vcc, s8, v2
	v_addc_co_u32_e32 v3, vcc, v3, v8, vcc
	s_waitcnt vmcnt(0)
	v_mul_f16_sdwa v7, v5, v4 dst_sel:DWORD dst_unused:UNUSED_PAD src0_sel:DWORD src1_sel:WORD_1
	v_fma_f16 v7, v6, v4, v7
	v_mul_f16_sdwa v6, v6, v4 dst_sel:DWORD dst_unused:UNUSED_PAD src0_sel:DWORD src1_sel:WORD_1
	v_cvt_f32_f16_e32 v7, v7
	v_fma_f16 v4, v4, v5, -v6
	v_cvt_f32_f16_e32 v6, v4
	v_cvt_f64_f32_e32 v[4:5], v7
	v_cvt_f64_f32_e32 v[6:7], v6
	v_mul_f64 v[4:5], v[4:5], s[14:15]
	v_mul_f64 v[6:7], v[6:7], s[14:15]
	v_and_or_b32 v4, v5, s16, v4
	v_cmp_ne_u32_e32 vcc, 0, v4
	v_and_or_b32 v6, v7, s16, v6
	v_lshrrev_b32_e32 v8, 8, v5
	v_bfe_u32 v9, v5, 20, 11
	v_cndmask_b32_e64 v4, 0, 1, vcc
	v_cmp_ne_u32_e32 vcc, 0, v6
	v_lshrrev_b32_e32 v10, 8, v7
	v_bfe_u32 v11, v7, 20, 11
	v_sub_u32_e32 v12, 0x3f1, v9
	v_cndmask_b32_e64 v6, 0, 1, vcc
	v_and_or_b32 v4, v8, s10, v4
	v_sub_u32_e32 v13, 0x3f1, v11
	v_med3_i32 v8, v12, 0, 13
	v_and_or_b32 v6, v10, s10, v6
	v_or_b32_e32 v12, 0x1000, v4
	v_add_u32_e32 v9, 0xfffffc10, v9
	v_med3_i32 v10, v13, 0, 13
	v_cmp_ne_u32_e32 vcc, 0, v4
	v_or_b32_e32 v14, 0x1000, v6
	v_lshrrev_b32_e32 v16, v8, v12
	v_add_u32_e32 v11, 0xfffffc10, v11
	v_lshl_or_b32 v13, v9, 12, v4
	v_cndmask_b32_e64 v4, 0, 1, vcc
	v_cmp_ne_u32_e32 vcc, 0, v6
	v_lshrrev_b32_e32 v17, v10, v14
	v_lshlrev_b32_e32 v8, v8, v16
	v_lshl_or_b32 v15, v11, 12, v6
	v_cndmask_b32_e64 v6, 0, 1, vcc
	v_lshlrev_b32_e32 v10, v10, v17
	v_cmp_ne_u32_e32 vcc, v8, v12
	v_cndmask_b32_e64 v8, 0, 1, vcc
	v_cmp_ne_u32_e32 vcc, v10, v14
	v_cndmask_b32_e64 v10, 0, 1, vcc
	v_or_b32_e32 v8, v16, v8
	v_cmp_gt_i32_e32 vcc, 1, v9
	v_cndmask_b32_e32 v8, v13, v8, vcc
	v_or_b32_e32 v10, v17, v10
	v_cmp_gt_i32_e32 vcc, 1, v11
	v_and_b32_e32 v12, 7, v8
	v_cndmask_b32_e32 v10, v15, v10, vcc
	v_cmp_lt_i32_e32 vcc, 5, v12
	v_cmp_eq_u32_e64 s[0:1], 3, v12
	v_lshrrev_b32_e32 v8, 2, v8
	v_and_b32_e32 v13, 7, v10
	s_or_b64 vcc, s[0:1], vcc
	v_cmp_lt_i32_e64 s[2:3], 5, v13
	v_cmp_eq_u32_e64 s[4:5], 3, v13
	v_addc_co_u32_e32 v8, vcc, 0, v8, vcc
	v_lshrrev_b32_e32 v10, 2, v10
	s_or_b64 vcc, s[4:5], s[2:3]
	v_addc_co_u32_e32 v10, vcc, 0, v10, vcc
	v_cmp_gt_i32_e32 vcc, 31, v9
	v_cndmask_b32_e32 v8, v0, v8, vcc
	v_cmp_gt_i32_e32 vcc, 31, v11
	v_lshl_or_b32 v4, v4, 9, v0
	v_cndmask_b32_e32 v10, v0, v10, vcc
	v_cmp_eq_u32_e32 vcc, s18, v9
	v_lshrrev_b32_e32 v5, 16, v5
	v_lshl_or_b32 v6, v6, 9, v0
	v_cndmask_b32_e32 v4, v8, v4, vcc
	v_cmp_eq_u32_e32 vcc, s18, v11
	v_lshrrev_b32_e32 v7, 16, v7
	v_cndmask_b32_e32 v6, v10, v6, vcc
	v_and_or_b32 v4, v5, s17, v4
	v_and_or_b32 v5, v7, s17, v6
	v_and_b32_e32 v4, 0xffff, v4
	v_lshl_or_b32 v4, v5, 16, v4
	global_store_dword v[2:3], v4, off
	global_load_dword v6, v45, s[6:7] offset:540
	ds_read2_b32 v[4:5], v1 offset0:135 offset1:180
	v_add_co_u32_e32 v2, vcc, s8, v2
	s_waitcnt lgkmcnt(0)
	v_lshrrev_b32_e32 v7, 16, v4
	s_waitcnt vmcnt(0)
	v_mul_f16_sdwa v8, v7, v6 dst_sel:DWORD dst_unused:UNUSED_PAD src0_sel:DWORD src1_sel:WORD_1
	v_fma_f16 v8, v4, v6, v8
	v_mul_f16_sdwa v4, v4, v6 dst_sel:DWORD dst_unused:UNUSED_PAD src0_sel:DWORD src1_sel:WORD_1
	v_cvt_f32_f16_e32 v8, v8
	v_fma_f16 v4, v6, v7, -v4
	v_cvt_f32_f16_e32 v4, v4
	v_cvt_f64_f32_e32 v[6:7], v8
	v_cvt_f64_f32_e32 v[8:9], v4
	v_mov_b32_e32 v4, s9
	v_mul_f64 v[6:7], v[6:7], s[14:15]
	v_addc_co_u32_e32 v3, vcc, v3, v4, vcc
	v_mul_f64 v[8:9], v[8:9], s[14:15]
	v_and_or_b32 v4, v7, s16, v6
	v_cmp_ne_u32_e32 vcc, 0, v4
	v_lshrrev_b32_e32 v6, 8, v7
	v_and_or_b32 v8, v9, s16, v8
	v_bfe_u32 v10, v7, 20, 11
	v_cndmask_b32_e64 v4, 0, 1, vcc
	v_cmp_ne_u32_e32 vcc, 0, v8
	v_lshrrev_b32_e32 v11, 8, v9
	v_bfe_u32 v12, v9, 20, 11
	v_sub_u32_e32 v13, 0x3f1, v10
	v_cndmask_b32_e64 v8, 0, 1, vcc
	v_and_or_b32 v4, v6, s10, v4
	v_sub_u32_e32 v14, 0x3f1, v12
	v_med3_i32 v6, v13, 0, 13
	v_and_or_b32 v8, v11, s10, v8
	v_or_b32_e32 v13, 0x1000, v4
	v_add_u32_e32 v10, 0xfffffc10, v10
	v_med3_i32 v11, v14, 0, 13
	v_cmp_ne_u32_e32 vcc, 0, v4
	v_or_b32_e32 v15, 0x1000, v8
	v_lshrrev_b32_e32 v17, v6, v13
	v_add_u32_e32 v12, 0xfffffc10, v12
	v_lshl_or_b32 v14, v10, 12, v4
	v_cndmask_b32_e64 v4, 0, 1, vcc
	v_cmp_ne_u32_e32 vcc, 0, v8
	v_lshrrev_b32_e32 v18, v11, v15
	v_lshlrev_b32_e32 v6, v6, v17
	v_lshl_or_b32 v16, v12, 12, v8
	v_cndmask_b32_e64 v8, 0, 1, vcc
	v_lshlrev_b32_e32 v11, v11, v18
	v_cmp_ne_u32_e32 vcc, v6, v13
	v_cndmask_b32_e64 v6, 0, 1, vcc
	v_cmp_ne_u32_e32 vcc, v11, v15
	v_cndmask_b32_e64 v11, 0, 1, vcc
	v_or_b32_e32 v6, v17, v6
	v_cmp_gt_i32_e32 vcc, 1, v10
	v_cndmask_b32_e32 v6, v14, v6, vcc
	v_or_b32_e32 v11, v18, v11
	v_cmp_gt_i32_e32 vcc, 1, v12
	v_and_b32_e32 v13, 7, v6
	v_cndmask_b32_e32 v11, v16, v11, vcc
	v_cmp_lt_i32_e32 vcc, 5, v13
	v_cmp_eq_u32_e64 s[0:1], 3, v13
	v_lshrrev_b32_e32 v6, 2, v6
	v_and_b32_e32 v14, 7, v11
	s_or_b64 vcc, s[0:1], vcc
	v_cmp_lt_i32_e64 s[2:3], 5, v14
	v_cmp_eq_u32_e64 s[4:5], 3, v14
	v_addc_co_u32_e32 v6, vcc, 0, v6, vcc
	v_lshrrev_b32_e32 v11, 2, v11
	s_or_b64 vcc, s[4:5], s[2:3]
	v_addc_co_u32_e32 v11, vcc, 0, v11, vcc
	v_cmp_gt_i32_e32 vcc, 31, v10
	v_cndmask_b32_e32 v6, v0, v6, vcc
	v_cmp_gt_i32_e32 vcc, 31, v12
	v_lshl_or_b32 v4, v4, 9, v0
	v_cndmask_b32_e32 v11, v0, v11, vcc
	v_cmp_eq_u32_e32 vcc, s18, v10
	v_lshrrev_b32_e32 v7, 16, v7
	v_lshl_or_b32 v8, v8, 9, v0
	v_cndmask_b32_e32 v4, v6, v4, vcc
	v_cmp_eq_u32_e32 vcc, s18, v12
	v_lshrrev_b32_e32 v9, 16, v9
	v_cndmask_b32_e32 v6, v11, v8, vcc
	v_and_or_b32 v4, v7, s17, v4
	v_and_or_b32 v6, v9, s17, v6
	v_and_b32_e32 v4, 0xffff, v4
	v_lshl_or_b32 v4, v6, 16, v4
	global_store_dword v[2:3], v4, off
	global_load_dword v4, v45, s[6:7] offset:720
	v_lshrrev_b32_e32 v6, 16, v5
	v_mov_b32_e32 v8, s9
	v_add_co_u32_e32 v2, vcc, s8, v2
	v_addc_co_u32_e32 v3, vcc, v3, v8, vcc
	s_waitcnt vmcnt(0)
	v_mul_f16_sdwa v7, v6, v4 dst_sel:DWORD dst_unused:UNUSED_PAD src0_sel:DWORD src1_sel:WORD_1
	v_fma_f16 v7, v5, v4, v7
	v_mul_f16_sdwa v5, v5, v4 dst_sel:DWORD dst_unused:UNUSED_PAD src0_sel:DWORD src1_sel:WORD_1
	v_cvt_f32_f16_e32 v7, v7
	v_fma_f16 v4, v4, v6, -v5
	v_cvt_f32_f16_e32 v6, v4
	v_cvt_f64_f32_e32 v[4:5], v7
	v_cvt_f64_f32_e32 v[6:7], v6
	v_mul_f64 v[4:5], v[4:5], s[14:15]
	v_mul_f64 v[6:7], v[6:7], s[14:15]
	v_and_or_b32 v4, v5, s16, v4
	v_cmp_ne_u32_e32 vcc, 0, v4
	v_and_or_b32 v6, v7, s16, v6
	v_lshrrev_b32_e32 v8, 8, v5
	v_bfe_u32 v9, v5, 20, 11
	v_cndmask_b32_e64 v4, 0, 1, vcc
	v_cmp_ne_u32_e32 vcc, 0, v6
	v_lshrrev_b32_e32 v10, 8, v7
	v_bfe_u32 v11, v7, 20, 11
	v_sub_u32_e32 v12, 0x3f1, v9
	v_cndmask_b32_e64 v6, 0, 1, vcc
	v_and_or_b32 v4, v8, s10, v4
	v_sub_u32_e32 v13, 0x3f1, v11
	v_med3_i32 v8, v12, 0, 13
	v_and_or_b32 v6, v10, s10, v6
	v_or_b32_e32 v12, 0x1000, v4
	v_add_u32_e32 v9, 0xfffffc10, v9
	v_med3_i32 v10, v13, 0, 13
	v_cmp_ne_u32_e32 vcc, 0, v4
	v_or_b32_e32 v14, 0x1000, v6
	v_lshrrev_b32_e32 v16, v8, v12
	v_add_u32_e32 v11, 0xfffffc10, v11
	v_lshl_or_b32 v13, v9, 12, v4
	v_cndmask_b32_e64 v4, 0, 1, vcc
	v_cmp_ne_u32_e32 vcc, 0, v6
	v_lshrrev_b32_e32 v17, v10, v14
	v_lshlrev_b32_e32 v8, v8, v16
	v_lshl_or_b32 v15, v11, 12, v6
	v_cndmask_b32_e64 v6, 0, 1, vcc
	v_lshlrev_b32_e32 v10, v10, v17
	v_cmp_ne_u32_e32 vcc, v8, v12
	v_cndmask_b32_e64 v8, 0, 1, vcc
	v_cmp_ne_u32_e32 vcc, v10, v14
	v_cndmask_b32_e64 v10, 0, 1, vcc
	v_or_b32_e32 v8, v16, v8
	v_cmp_gt_i32_e32 vcc, 1, v9
	v_cndmask_b32_e32 v8, v13, v8, vcc
	v_or_b32_e32 v10, v17, v10
	v_cmp_gt_i32_e32 vcc, 1, v11
	v_and_b32_e32 v12, 7, v8
	v_cndmask_b32_e32 v10, v15, v10, vcc
	v_cmp_lt_i32_e32 vcc, 5, v12
	v_cmp_eq_u32_e64 s[0:1], 3, v12
	v_lshrrev_b32_e32 v8, 2, v8
	v_and_b32_e32 v13, 7, v10
	s_or_b64 vcc, s[0:1], vcc
	v_cmp_lt_i32_e64 s[2:3], 5, v13
	v_cmp_eq_u32_e64 s[4:5], 3, v13
	v_addc_co_u32_e32 v8, vcc, 0, v8, vcc
	v_lshrrev_b32_e32 v10, 2, v10
	s_or_b64 vcc, s[4:5], s[2:3]
	v_addc_co_u32_e32 v10, vcc, 0, v10, vcc
	v_cmp_gt_i32_e32 vcc, 31, v9
	v_cndmask_b32_e32 v8, v0, v8, vcc
	v_cmp_gt_i32_e32 vcc, 31, v11
	v_lshl_or_b32 v4, v4, 9, v0
	v_cndmask_b32_e32 v10, v0, v10, vcc
	v_cmp_eq_u32_e32 vcc, s18, v9
	v_lshrrev_b32_e32 v5, 16, v5
	v_lshl_or_b32 v6, v6, 9, v0
	v_cndmask_b32_e32 v4, v8, v4, vcc
	v_cmp_eq_u32_e32 vcc, s18, v11
	v_lshrrev_b32_e32 v7, 16, v7
	v_cndmask_b32_e32 v6, v10, v6, vcc
	v_and_or_b32 v4, v5, s17, v4
	v_and_or_b32 v5, v7, s17, v6
	v_and_b32_e32 v4, 0xffff, v4
	v_lshl_or_b32 v4, v5, 16, v4
	global_store_dword v[2:3], v4, off
	global_load_dword v6, v45, s[6:7] offset:900
	v_add_u32_e32 v4, 0x200, v1
	ds_read2_b32 v[4:5], v4 offset0:97 offset1:142
	v_add_co_u32_e32 v2, vcc, s8, v2
	s_waitcnt lgkmcnt(0)
	v_lshrrev_b32_e32 v7, 16, v4
	s_waitcnt vmcnt(0)
	v_mul_f16_sdwa v8, v7, v6 dst_sel:DWORD dst_unused:UNUSED_PAD src0_sel:DWORD src1_sel:WORD_1
	v_fma_f16 v8, v4, v6, v8
	v_mul_f16_sdwa v4, v4, v6 dst_sel:DWORD dst_unused:UNUSED_PAD src0_sel:DWORD src1_sel:WORD_1
	v_cvt_f32_f16_e32 v8, v8
	v_fma_f16 v4, v6, v7, -v4
	v_cvt_f32_f16_e32 v4, v4
	v_cvt_f64_f32_e32 v[6:7], v8
	v_cvt_f64_f32_e32 v[8:9], v4
	v_mov_b32_e32 v4, s9
	v_mul_f64 v[6:7], v[6:7], s[14:15]
	v_addc_co_u32_e32 v3, vcc, v3, v4, vcc
	v_mul_f64 v[8:9], v[8:9], s[14:15]
	v_and_or_b32 v4, v7, s16, v6
	v_cmp_ne_u32_e32 vcc, 0, v4
	v_lshrrev_b32_e32 v6, 8, v7
	v_and_or_b32 v8, v9, s16, v8
	v_bfe_u32 v10, v7, 20, 11
	v_cndmask_b32_e64 v4, 0, 1, vcc
	v_cmp_ne_u32_e32 vcc, 0, v8
	v_lshrrev_b32_e32 v11, 8, v9
	v_bfe_u32 v12, v9, 20, 11
	v_sub_u32_e32 v13, 0x3f1, v10
	v_cndmask_b32_e64 v8, 0, 1, vcc
	v_and_or_b32 v4, v6, s10, v4
	v_sub_u32_e32 v14, 0x3f1, v12
	v_med3_i32 v6, v13, 0, 13
	v_and_or_b32 v8, v11, s10, v8
	v_or_b32_e32 v13, 0x1000, v4
	v_add_u32_e32 v10, 0xfffffc10, v10
	v_med3_i32 v11, v14, 0, 13
	v_cmp_ne_u32_e32 vcc, 0, v4
	v_or_b32_e32 v15, 0x1000, v8
	v_lshrrev_b32_e32 v17, v6, v13
	v_add_u32_e32 v12, 0xfffffc10, v12
	v_lshl_or_b32 v14, v10, 12, v4
	v_cndmask_b32_e64 v4, 0, 1, vcc
	v_cmp_ne_u32_e32 vcc, 0, v8
	v_lshrrev_b32_e32 v18, v11, v15
	v_lshlrev_b32_e32 v6, v6, v17
	v_lshl_or_b32 v16, v12, 12, v8
	v_cndmask_b32_e64 v8, 0, 1, vcc
	v_lshlrev_b32_e32 v11, v11, v18
	v_cmp_ne_u32_e32 vcc, v6, v13
	v_cndmask_b32_e64 v6, 0, 1, vcc
	v_cmp_ne_u32_e32 vcc, v11, v15
	v_cndmask_b32_e64 v11, 0, 1, vcc
	v_or_b32_e32 v6, v17, v6
	v_cmp_gt_i32_e32 vcc, 1, v10
	v_cndmask_b32_e32 v6, v14, v6, vcc
	v_or_b32_e32 v11, v18, v11
	v_cmp_gt_i32_e32 vcc, 1, v12
	v_and_b32_e32 v13, 7, v6
	v_cndmask_b32_e32 v11, v16, v11, vcc
	v_cmp_lt_i32_e32 vcc, 5, v13
	v_cmp_eq_u32_e64 s[0:1], 3, v13
	v_lshrrev_b32_e32 v6, 2, v6
	v_and_b32_e32 v14, 7, v11
	s_or_b64 vcc, s[0:1], vcc
	v_cmp_lt_i32_e64 s[2:3], 5, v14
	v_cmp_eq_u32_e64 s[4:5], 3, v14
	v_addc_co_u32_e32 v6, vcc, 0, v6, vcc
	v_lshrrev_b32_e32 v11, 2, v11
	s_or_b64 vcc, s[4:5], s[2:3]
	v_addc_co_u32_e32 v11, vcc, 0, v11, vcc
	v_cmp_gt_i32_e32 vcc, 31, v10
	v_cndmask_b32_e32 v6, v0, v6, vcc
	v_cmp_gt_i32_e32 vcc, 31, v12
	v_lshl_or_b32 v4, v4, 9, v0
	v_cndmask_b32_e32 v11, v0, v11, vcc
	v_cmp_eq_u32_e32 vcc, s18, v10
	v_lshrrev_b32_e32 v7, 16, v7
	v_lshl_or_b32 v8, v8, 9, v0
	v_cndmask_b32_e32 v4, v6, v4, vcc
	v_cmp_eq_u32_e32 vcc, s18, v12
	v_lshrrev_b32_e32 v9, 16, v9
	v_cndmask_b32_e32 v6, v11, v8, vcc
	v_and_or_b32 v4, v7, s17, v4
	v_and_or_b32 v6, v9, s17, v6
	v_and_b32_e32 v4, 0xffff, v4
	v_lshl_or_b32 v4, v6, 16, v4
	global_store_dword v[2:3], v4, off
	global_load_dword v4, v45, s[6:7] offset:1080
	v_lshrrev_b32_e32 v6, 16, v5
	v_mov_b32_e32 v8, s9
	v_add_co_u32_e32 v2, vcc, s8, v2
	v_addc_co_u32_e32 v3, vcc, v3, v8, vcc
	s_waitcnt vmcnt(0)
	v_mul_f16_sdwa v7, v6, v4 dst_sel:DWORD dst_unused:UNUSED_PAD src0_sel:DWORD src1_sel:WORD_1
	v_fma_f16 v7, v5, v4, v7
	v_mul_f16_sdwa v5, v5, v4 dst_sel:DWORD dst_unused:UNUSED_PAD src0_sel:DWORD src1_sel:WORD_1
	v_cvt_f32_f16_e32 v7, v7
	v_fma_f16 v4, v4, v6, -v5
	v_cvt_f32_f16_e32 v6, v4
	v_cvt_f64_f32_e32 v[4:5], v7
	v_cvt_f64_f32_e32 v[6:7], v6
	v_mul_f64 v[4:5], v[4:5], s[14:15]
	v_mul_f64 v[6:7], v[6:7], s[14:15]
	v_and_or_b32 v4, v5, s16, v4
	v_cmp_ne_u32_e32 vcc, 0, v4
	v_and_or_b32 v6, v7, s16, v6
	v_lshrrev_b32_e32 v8, 8, v5
	v_bfe_u32 v9, v5, 20, 11
	v_cndmask_b32_e64 v4, 0, 1, vcc
	v_cmp_ne_u32_e32 vcc, 0, v6
	v_lshrrev_b32_e32 v10, 8, v7
	v_bfe_u32 v11, v7, 20, 11
	v_sub_u32_e32 v12, 0x3f1, v9
	v_cndmask_b32_e64 v6, 0, 1, vcc
	v_and_or_b32 v4, v8, s10, v4
	v_sub_u32_e32 v13, 0x3f1, v11
	v_med3_i32 v8, v12, 0, 13
	v_and_or_b32 v6, v10, s10, v6
	v_or_b32_e32 v12, 0x1000, v4
	v_add_u32_e32 v9, 0xfffffc10, v9
	v_med3_i32 v10, v13, 0, 13
	v_cmp_ne_u32_e32 vcc, 0, v4
	v_or_b32_e32 v14, 0x1000, v6
	v_lshrrev_b32_e32 v16, v8, v12
	v_add_u32_e32 v11, 0xfffffc10, v11
	v_lshl_or_b32 v13, v9, 12, v4
	v_cndmask_b32_e64 v4, 0, 1, vcc
	v_cmp_ne_u32_e32 vcc, 0, v6
	v_lshrrev_b32_e32 v17, v10, v14
	v_lshlrev_b32_e32 v8, v8, v16
	v_lshl_or_b32 v15, v11, 12, v6
	v_cndmask_b32_e64 v6, 0, 1, vcc
	v_lshlrev_b32_e32 v10, v10, v17
	v_cmp_ne_u32_e32 vcc, v8, v12
	v_cndmask_b32_e64 v8, 0, 1, vcc
	v_cmp_ne_u32_e32 vcc, v10, v14
	v_cndmask_b32_e64 v10, 0, 1, vcc
	v_or_b32_e32 v8, v16, v8
	v_cmp_gt_i32_e32 vcc, 1, v9
	v_cndmask_b32_e32 v8, v13, v8, vcc
	v_or_b32_e32 v10, v17, v10
	v_cmp_gt_i32_e32 vcc, 1, v11
	v_and_b32_e32 v12, 7, v8
	v_cndmask_b32_e32 v10, v15, v10, vcc
	v_cmp_lt_i32_e32 vcc, 5, v12
	v_cmp_eq_u32_e64 s[0:1], 3, v12
	v_lshrrev_b32_e32 v8, 2, v8
	v_and_b32_e32 v13, 7, v10
	s_or_b64 vcc, s[0:1], vcc
	v_cmp_lt_i32_e64 s[2:3], 5, v13
	v_cmp_eq_u32_e64 s[4:5], 3, v13
	v_addc_co_u32_e32 v8, vcc, 0, v8, vcc
	v_lshrrev_b32_e32 v10, 2, v10
	s_or_b64 vcc, s[4:5], s[2:3]
	v_addc_co_u32_e32 v10, vcc, 0, v10, vcc
	v_cmp_gt_i32_e32 vcc, 31, v9
	v_cndmask_b32_e32 v8, v0, v8, vcc
	v_cmp_gt_i32_e32 vcc, 31, v11
	v_lshl_or_b32 v4, v4, 9, v0
	v_cndmask_b32_e32 v10, v0, v10, vcc
	v_cmp_eq_u32_e32 vcc, s18, v9
	v_lshrrev_b32_e32 v5, 16, v5
	v_lshl_or_b32 v6, v6, 9, v0
	v_cndmask_b32_e32 v4, v8, v4, vcc
	v_cmp_eq_u32_e32 vcc, s18, v11
	v_lshrrev_b32_e32 v7, 16, v7
	v_cndmask_b32_e32 v6, v10, v6, vcc
	v_and_or_b32 v4, v5, s17, v4
	v_and_or_b32 v5, v7, s17, v6
	v_and_b32_e32 v4, 0xffff, v4
	v_lshl_or_b32 v4, v5, 16, v4
	global_store_dword v[2:3], v4, off
	global_load_dword v6, v45, s[6:7] offset:1260
	v_add_u32_e32 v10, 0x400, v1
	ds_read2_b32 v[4:5], v10 offset0:59 offset1:104
	v_add_co_u32_e32 v2, vcc, s8, v2
	s_waitcnt lgkmcnt(0)
	v_lshrrev_b32_e32 v7, 16, v4
	s_waitcnt vmcnt(0)
	v_mul_f16_sdwa v8, v7, v6 dst_sel:DWORD dst_unused:UNUSED_PAD src0_sel:DWORD src1_sel:WORD_1
	v_fma_f16 v8, v4, v6, v8
	v_mul_f16_sdwa v4, v4, v6 dst_sel:DWORD dst_unused:UNUSED_PAD src0_sel:DWORD src1_sel:WORD_1
	v_cvt_f32_f16_e32 v8, v8
	v_fma_f16 v4, v6, v7, -v4
	v_cvt_f32_f16_e32 v4, v4
	v_cvt_f64_f32_e32 v[6:7], v8
	v_cvt_f64_f32_e32 v[8:9], v4
	v_mov_b32_e32 v4, s9
	v_mul_f64 v[6:7], v[6:7], s[14:15]
	v_addc_co_u32_e32 v3, vcc, v3, v4, vcc
	v_mul_f64 v[8:9], v[8:9], s[14:15]
	v_and_or_b32 v4, v7, s16, v6
	v_cmp_ne_u32_e32 vcc, 0, v4
	v_lshrrev_b32_e32 v6, 8, v7
	v_and_or_b32 v8, v9, s16, v8
	v_bfe_u32 v11, v7, 20, 11
	v_cndmask_b32_e64 v4, 0, 1, vcc
	v_cmp_ne_u32_e32 vcc, 0, v8
	v_lshrrev_b32_e32 v12, 8, v9
	v_bfe_u32 v13, v9, 20, 11
	v_sub_u32_e32 v14, 0x3f1, v11
	v_cndmask_b32_e64 v8, 0, 1, vcc
	v_and_or_b32 v4, v6, s10, v4
	v_sub_u32_e32 v15, 0x3f1, v13
	v_med3_i32 v6, v14, 0, 13
	v_and_or_b32 v8, v12, s10, v8
	v_or_b32_e32 v14, 0x1000, v4
	v_add_u32_e32 v11, 0xfffffc10, v11
	v_med3_i32 v12, v15, 0, 13
	v_cmp_ne_u32_e32 vcc, 0, v4
	v_or_b32_e32 v16, 0x1000, v8
	v_lshrrev_b32_e32 v18, v6, v14
	v_add_u32_e32 v13, 0xfffffc10, v13
	v_lshl_or_b32 v15, v11, 12, v4
	v_cndmask_b32_e64 v4, 0, 1, vcc
	v_cmp_ne_u32_e32 vcc, 0, v8
	v_lshrrev_b32_e32 v19, v12, v16
	v_lshlrev_b32_e32 v6, v6, v18
	v_lshl_or_b32 v17, v13, 12, v8
	v_cndmask_b32_e64 v8, 0, 1, vcc
	v_lshlrev_b32_e32 v12, v12, v19
	v_cmp_ne_u32_e32 vcc, v6, v14
	v_cndmask_b32_e64 v6, 0, 1, vcc
	v_cmp_ne_u32_e32 vcc, v12, v16
	v_cndmask_b32_e64 v12, 0, 1, vcc
	v_or_b32_e32 v6, v18, v6
	v_cmp_gt_i32_e32 vcc, 1, v11
	v_cndmask_b32_e32 v6, v15, v6, vcc
	v_or_b32_e32 v12, v19, v12
	v_cmp_gt_i32_e32 vcc, 1, v13
	v_and_b32_e32 v14, 7, v6
	v_cndmask_b32_e32 v12, v17, v12, vcc
	v_cmp_lt_i32_e32 vcc, 5, v14
	v_cmp_eq_u32_e64 s[0:1], 3, v14
	v_lshrrev_b32_e32 v6, 2, v6
	v_and_b32_e32 v15, 7, v12
	s_or_b64 vcc, s[0:1], vcc
	v_cmp_lt_i32_e64 s[2:3], 5, v15
	v_cmp_eq_u32_e64 s[4:5], 3, v15
	v_addc_co_u32_e32 v6, vcc, 0, v6, vcc
	v_lshrrev_b32_e32 v12, 2, v12
	s_or_b64 vcc, s[4:5], s[2:3]
	v_addc_co_u32_e32 v12, vcc, 0, v12, vcc
	v_cmp_gt_i32_e32 vcc, 31, v11
	v_cndmask_b32_e32 v6, v0, v6, vcc
	v_cmp_gt_i32_e32 vcc, 31, v13
	v_lshl_or_b32 v4, v4, 9, v0
	v_cndmask_b32_e32 v12, v0, v12, vcc
	v_cmp_eq_u32_e32 vcc, s18, v11
	v_lshrrev_b32_e32 v7, 16, v7
	v_lshl_or_b32 v8, v8, 9, v0
	v_cndmask_b32_e32 v4, v6, v4, vcc
	v_cmp_eq_u32_e32 vcc, s18, v13
	v_lshrrev_b32_e32 v9, 16, v9
	v_cndmask_b32_e32 v6, v12, v8, vcc
	v_and_or_b32 v4, v7, s17, v4
	v_and_or_b32 v6, v9, s17, v6
	v_and_b32_e32 v4, 0xffff, v4
	v_lshl_or_b32 v4, v6, 16, v4
	global_store_dword v[2:3], v4, off
	global_load_dword v4, v45, s[6:7] offset:1440
	v_lshrrev_b32_e32 v6, 16, v5
	v_mov_b32_e32 v8, s9
	v_add_co_u32_e32 v2, vcc, s8, v2
	v_addc_co_u32_e32 v3, vcc, v3, v8, vcc
	s_waitcnt vmcnt(0)
	v_mul_f16_sdwa v7, v6, v4 dst_sel:DWORD dst_unused:UNUSED_PAD src0_sel:DWORD src1_sel:WORD_1
	v_fma_f16 v7, v5, v4, v7
	v_mul_f16_sdwa v5, v5, v4 dst_sel:DWORD dst_unused:UNUSED_PAD src0_sel:DWORD src1_sel:WORD_1
	v_cvt_f32_f16_e32 v7, v7
	v_fma_f16 v4, v4, v6, -v5
	v_cvt_f32_f16_e32 v6, v4
	v_cvt_f64_f32_e32 v[4:5], v7
	v_cvt_f64_f32_e32 v[6:7], v6
	v_mul_f64 v[4:5], v[4:5], s[14:15]
	v_mul_f64 v[6:7], v[6:7], s[14:15]
	v_and_or_b32 v4, v5, s16, v4
	v_cmp_ne_u32_e32 vcc, 0, v4
	v_and_or_b32 v6, v7, s16, v6
	v_lshrrev_b32_e32 v8, 8, v5
	v_bfe_u32 v9, v5, 20, 11
	v_cndmask_b32_e64 v4, 0, 1, vcc
	v_cmp_ne_u32_e32 vcc, 0, v6
	v_lshrrev_b32_e32 v11, 8, v7
	v_bfe_u32 v12, v7, 20, 11
	v_sub_u32_e32 v13, 0x3f1, v9
	v_cndmask_b32_e64 v6, 0, 1, vcc
	v_and_or_b32 v4, v8, s10, v4
	v_sub_u32_e32 v14, 0x3f1, v12
	v_med3_i32 v8, v13, 0, 13
	v_and_or_b32 v6, v11, s10, v6
	v_or_b32_e32 v13, 0x1000, v4
	v_add_u32_e32 v9, 0xfffffc10, v9
	v_med3_i32 v11, v14, 0, 13
	v_cmp_ne_u32_e32 vcc, 0, v4
	v_or_b32_e32 v15, 0x1000, v6
	v_lshrrev_b32_e32 v17, v8, v13
	v_add_u32_e32 v12, 0xfffffc10, v12
	v_lshl_or_b32 v14, v9, 12, v4
	v_cndmask_b32_e64 v4, 0, 1, vcc
	v_cmp_ne_u32_e32 vcc, 0, v6
	v_lshrrev_b32_e32 v18, v11, v15
	v_lshlrev_b32_e32 v8, v8, v17
	v_lshl_or_b32 v16, v12, 12, v6
	v_cndmask_b32_e64 v6, 0, 1, vcc
	v_lshlrev_b32_e32 v11, v11, v18
	v_cmp_ne_u32_e32 vcc, v8, v13
	v_cndmask_b32_e64 v8, 0, 1, vcc
	v_cmp_ne_u32_e32 vcc, v11, v15
	v_cndmask_b32_e64 v11, 0, 1, vcc
	v_or_b32_e32 v8, v17, v8
	v_cmp_gt_i32_e32 vcc, 1, v9
	v_cndmask_b32_e32 v8, v14, v8, vcc
	v_or_b32_e32 v11, v18, v11
	v_cmp_gt_i32_e32 vcc, 1, v12
	v_and_b32_e32 v13, 7, v8
	v_cndmask_b32_e32 v11, v16, v11, vcc
	v_cmp_lt_i32_e32 vcc, 5, v13
	v_cmp_eq_u32_e64 s[0:1], 3, v13
	v_lshrrev_b32_e32 v8, 2, v8
	v_and_b32_e32 v14, 7, v11
	s_or_b64 vcc, s[0:1], vcc
	v_cmp_lt_i32_e64 s[2:3], 5, v14
	v_cmp_eq_u32_e64 s[4:5], 3, v14
	v_addc_co_u32_e32 v8, vcc, 0, v8, vcc
	v_lshrrev_b32_e32 v11, 2, v11
	s_or_b64 vcc, s[4:5], s[2:3]
	v_addc_co_u32_e32 v11, vcc, 0, v11, vcc
	v_cmp_gt_i32_e32 vcc, 31, v9
	v_cndmask_b32_e32 v8, v0, v8, vcc
	v_cmp_gt_i32_e32 vcc, 31, v12
	v_lshl_or_b32 v4, v4, 9, v0
	v_cndmask_b32_e32 v11, v0, v11, vcc
	v_cmp_eq_u32_e32 vcc, s18, v9
	v_lshrrev_b32_e32 v5, 16, v5
	v_lshl_or_b32 v6, v6, 9, v0
	v_cndmask_b32_e32 v4, v8, v4, vcc
	v_cmp_eq_u32_e32 vcc, s18, v12
	v_lshrrev_b32_e32 v7, 16, v7
	v_cndmask_b32_e32 v6, v11, v6, vcc
	v_and_or_b32 v4, v5, s17, v4
	v_and_or_b32 v5, v7, s17, v6
	v_and_b32_e32 v4, 0xffff, v4
	v_lshl_or_b32 v4, v5, 16, v4
	global_store_dword v[2:3], v4, off
	global_load_dword v6, v45, s[6:7] offset:1620
	ds_read2_b32 v[4:5], v10 offset0:149 offset1:194
	v_add_co_u32_e32 v2, vcc, s8, v2
	s_waitcnt lgkmcnt(0)
	v_lshrrev_b32_e32 v7, 16, v4
	s_waitcnt vmcnt(0)
	v_mul_f16_sdwa v8, v7, v6 dst_sel:DWORD dst_unused:UNUSED_PAD src0_sel:DWORD src1_sel:WORD_1
	v_fma_f16 v8, v4, v6, v8
	v_mul_f16_sdwa v4, v4, v6 dst_sel:DWORD dst_unused:UNUSED_PAD src0_sel:DWORD src1_sel:WORD_1
	v_cvt_f32_f16_e32 v8, v8
	v_fma_f16 v4, v6, v7, -v4
	v_cvt_f32_f16_e32 v4, v4
	v_cvt_f64_f32_e32 v[6:7], v8
	v_cvt_f64_f32_e32 v[8:9], v4
	v_mov_b32_e32 v4, s9
	v_mul_f64 v[6:7], v[6:7], s[14:15]
	v_addc_co_u32_e32 v3, vcc, v3, v4, vcc
	v_mul_f64 v[8:9], v[8:9], s[14:15]
	v_and_or_b32 v4, v7, s16, v6
	v_cmp_ne_u32_e32 vcc, 0, v4
	v_lshrrev_b32_e32 v6, 8, v7
	v_and_or_b32 v8, v9, s16, v8
	v_bfe_u32 v10, v7, 20, 11
	v_cndmask_b32_e64 v4, 0, 1, vcc
	v_cmp_ne_u32_e32 vcc, 0, v8
	v_lshrrev_b32_e32 v11, 8, v9
	v_bfe_u32 v12, v9, 20, 11
	v_sub_u32_e32 v13, 0x3f1, v10
	v_cndmask_b32_e64 v8, 0, 1, vcc
	v_and_or_b32 v4, v6, s10, v4
	v_sub_u32_e32 v14, 0x3f1, v12
	v_med3_i32 v6, v13, 0, 13
	v_and_or_b32 v8, v11, s10, v8
	v_or_b32_e32 v13, 0x1000, v4
	v_add_u32_e32 v10, 0xfffffc10, v10
	v_med3_i32 v11, v14, 0, 13
	v_cmp_ne_u32_e32 vcc, 0, v4
	v_or_b32_e32 v15, 0x1000, v8
	v_lshrrev_b32_e32 v17, v6, v13
	v_add_u32_e32 v12, 0xfffffc10, v12
	v_lshl_or_b32 v14, v10, 12, v4
	v_cndmask_b32_e64 v4, 0, 1, vcc
	v_cmp_ne_u32_e32 vcc, 0, v8
	v_lshrrev_b32_e32 v18, v11, v15
	v_lshlrev_b32_e32 v6, v6, v17
	v_lshl_or_b32 v16, v12, 12, v8
	v_cndmask_b32_e64 v8, 0, 1, vcc
	v_lshlrev_b32_e32 v11, v11, v18
	v_cmp_ne_u32_e32 vcc, v6, v13
	v_cndmask_b32_e64 v6, 0, 1, vcc
	v_cmp_ne_u32_e32 vcc, v11, v15
	v_cndmask_b32_e64 v11, 0, 1, vcc
	v_or_b32_e32 v6, v17, v6
	v_cmp_gt_i32_e32 vcc, 1, v10
	v_cndmask_b32_e32 v6, v14, v6, vcc
	v_or_b32_e32 v11, v18, v11
	v_cmp_gt_i32_e32 vcc, 1, v12
	v_and_b32_e32 v13, 7, v6
	v_cndmask_b32_e32 v11, v16, v11, vcc
	v_cmp_lt_i32_e32 vcc, 5, v13
	v_cmp_eq_u32_e64 s[0:1], 3, v13
	v_lshrrev_b32_e32 v6, 2, v6
	v_and_b32_e32 v14, 7, v11
	s_or_b64 vcc, s[0:1], vcc
	v_cmp_lt_i32_e64 s[2:3], 5, v14
	v_cmp_eq_u32_e64 s[4:5], 3, v14
	v_addc_co_u32_e32 v6, vcc, 0, v6, vcc
	v_lshrrev_b32_e32 v11, 2, v11
	s_or_b64 vcc, s[4:5], s[2:3]
	v_addc_co_u32_e32 v11, vcc, 0, v11, vcc
	v_cmp_gt_i32_e32 vcc, 31, v10
	v_cndmask_b32_e32 v6, v0, v6, vcc
	v_cmp_gt_i32_e32 vcc, 31, v12
	v_lshl_or_b32 v4, v4, 9, v0
	v_cndmask_b32_e32 v11, v0, v11, vcc
	v_cmp_eq_u32_e32 vcc, s18, v10
	v_lshrrev_b32_e32 v7, 16, v7
	v_lshl_or_b32 v8, v8, 9, v0
	v_cndmask_b32_e32 v4, v6, v4, vcc
	v_cmp_eq_u32_e32 vcc, s18, v12
	v_lshrrev_b32_e32 v9, 16, v9
	v_cndmask_b32_e32 v6, v11, v8, vcc
	v_and_or_b32 v4, v7, s17, v4
	v_and_or_b32 v6, v9, s17, v6
	v_and_b32_e32 v4, 0xffff, v4
	v_lshl_or_b32 v4, v6, 16, v4
	global_store_dword v[2:3], v4, off
	global_load_dword v4, v45, s[6:7] offset:1800
	v_lshrrev_b32_e32 v6, 16, v5
	v_mov_b32_e32 v8, s9
	v_add_co_u32_e32 v2, vcc, s8, v2
	v_addc_co_u32_e32 v3, vcc, v3, v8, vcc
	s_waitcnt vmcnt(0)
	v_mul_f16_sdwa v7, v6, v4 dst_sel:DWORD dst_unused:UNUSED_PAD src0_sel:DWORD src1_sel:WORD_1
	v_fma_f16 v7, v5, v4, v7
	v_mul_f16_sdwa v5, v5, v4 dst_sel:DWORD dst_unused:UNUSED_PAD src0_sel:DWORD src1_sel:WORD_1
	v_cvt_f32_f16_e32 v7, v7
	v_fma_f16 v4, v4, v6, -v5
	v_cvt_f32_f16_e32 v6, v4
	v_cvt_f64_f32_e32 v[4:5], v7
	v_cvt_f64_f32_e32 v[6:7], v6
	v_mul_f64 v[4:5], v[4:5], s[14:15]
	v_mul_f64 v[6:7], v[6:7], s[14:15]
	v_and_or_b32 v4, v5, s16, v4
	v_cmp_ne_u32_e32 vcc, 0, v4
	v_and_or_b32 v6, v7, s16, v6
	v_lshrrev_b32_e32 v8, 8, v5
	v_bfe_u32 v9, v5, 20, 11
	v_cndmask_b32_e64 v4, 0, 1, vcc
	v_cmp_ne_u32_e32 vcc, 0, v6
	v_lshrrev_b32_e32 v10, 8, v7
	v_bfe_u32 v11, v7, 20, 11
	v_sub_u32_e32 v12, 0x3f1, v9
	v_cndmask_b32_e64 v6, 0, 1, vcc
	v_and_or_b32 v4, v8, s10, v4
	v_sub_u32_e32 v13, 0x3f1, v11
	v_med3_i32 v8, v12, 0, 13
	v_and_or_b32 v6, v10, s10, v6
	v_or_b32_e32 v12, 0x1000, v4
	v_add_u32_e32 v9, 0xfffffc10, v9
	v_med3_i32 v10, v13, 0, 13
	v_cmp_ne_u32_e32 vcc, 0, v4
	v_or_b32_e32 v14, 0x1000, v6
	v_lshrrev_b32_e32 v16, v8, v12
	v_add_u32_e32 v11, 0xfffffc10, v11
	v_lshl_or_b32 v13, v9, 12, v4
	v_cndmask_b32_e64 v4, 0, 1, vcc
	v_cmp_ne_u32_e32 vcc, 0, v6
	v_lshrrev_b32_e32 v17, v10, v14
	v_lshlrev_b32_e32 v8, v8, v16
	v_lshl_or_b32 v15, v11, 12, v6
	v_cndmask_b32_e64 v6, 0, 1, vcc
	v_lshlrev_b32_e32 v10, v10, v17
	v_cmp_ne_u32_e32 vcc, v8, v12
	v_cndmask_b32_e64 v8, 0, 1, vcc
	v_cmp_ne_u32_e32 vcc, v10, v14
	v_cndmask_b32_e64 v10, 0, 1, vcc
	v_or_b32_e32 v8, v16, v8
	v_cmp_gt_i32_e32 vcc, 1, v9
	v_cndmask_b32_e32 v8, v13, v8, vcc
	v_or_b32_e32 v10, v17, v10
	v_cmp_gt_i32_e32 vcc, 1, v11
	v_and_b32_e32 v12, 7, v8
	v_cndmask_b32_e32 v10, v15, v10, vcc
	v_cmp_lt_i32_e32 vcc, 5, v12
	v_cmp_eq_u32_e64 s[0:1], 3, v12
	v_lshrrev_b32_e32 v8, 2, v8
	v_and_b32_e32 v13, 7, v10
	s_or_b64 vcc, s[0:1], vcc
	v_cmp_lt_i32_e64 s[2:3], 5, v13
	v_cmp_eq_u32_e64 s[4:5], 3, v13
	v_addc_co_u32_e32 v8, vcc, 0, v8, vcc
	v_lshrrev_b32_e32 v10, 2, v10
	s_or_b64 vcc, s[4:5], s[2:3]
	v_addc_co_u32_e32 v10, vcc, 0, v10, vcc
	v_cmp_gt_i32_e32 vcc, 31, v9
	v_cndmask_b32_e32 v8, v0, v8, vcc
	v_cmp_gt_i32_e32 vcc, 31, v11
	v_lshl_or_b32 v4, v4, 9, v0
	v_cndmask_b32_e32 v10, v0, v10, vcc
	v_cmp_eq_u32_e32 vcc, s18, v9
	v_lshrrev_b32_e32 v5, 16, v5
	v_lshl_or_b32 v6, v6, 9, v0
	v_cndmask_b32_e32 v4, v8, v4, vcc
	v_cmp_eq_u32_e32 vcc, s18, v11
	v_lshrrev_b32_e32 v7, 16, v7
	v_cndmask_b32_e32 v6, v10, v6, vcc
	v_and_or_b32 v4, v5, s17, v4
	v_and_or_b32 v5, v7, s17, v6
	v_and_b32_e32 v4, 0xffff, v4
	v_lshl_or_b32 v4, v5, 16, v4
	global_store_dword v[2:3], v4, off
	global_load_dword v6, v45, s[6:7] offset:1980
	v_add_u32_e32 v4, 0x600, v1
	ds_read2_b32 v[4:5], v4 offset0:111 offset1:156
	v_add_co_u32_e32 v2, vcc, s8, v2
	s_waitcnt lgkmcnt(0)
	v_lshrrev_b32_e32 v7, 16, v4
	s_waitcnt vmcnt(0)
	v_mul_f16_sdwa v8, v7, v6 dst_sel:DWORD dst_unused:UNUSED_PAD src0_sel:DWORD src1_sel:WORD_1
	v_fma_f16 v8, v4, v6, v8
	v_mul_f16_sdwa v4, v4, v6 dst_sel:DWORD dst_unused:UNUSED_PAD src0_sel:DWORD src1_sel:WORD_1
	v_cvt_f32_f16_e32 v8, v8
	v_fma_f16 v4, v6, v7, -v4
	v_cvt_f32_f16_e32 v4, v4
	v_cvt_f64_f32_e32 v[6:7], v8
	v_cvt_f64_f32_e32 v[8:9], v4
	v_mov_b32_e32 v4, s9
	v_mul_f64 v[6:7], v[6:7], s[14:15]
	v_addc_co_u32_e32 v3, vcc, v3, v4, vcc
	v_mul_f64 v[8:9], v[8:9], s[14:15]
	v_and_or_b32 v4, v7, s16, v6
	v_cmp_ne_u32_e32 vcc, 0, v4
	v_lshrrev_b32_e32 v6, 8, v7
	v_and_or_b32 v8, v9, s16, v8
	v_bfe_u32 v10, v7, 20, 11
	v_cndmask_b32_e64 v4, 0, 1, vcc
	v_cmp_ne_u32_e32 vcc, 0, v8
	v_lshrrev_b32_e32 v11, 8, v9
	v_bfe_u32 v12, v9, 20, 11
	v_sub_u32_e32 v13, 0x3f1, v10
	v_cndmask_b32_e64 v8, 0, 1, vcc
	v_and_or_b32 v4, v6, s10, v4
	v_sub_u32_e32 v14, 0x3f1, v12
	v_med3_i32 v6, v13, 0, 13
	v_and_or_b32 v8, v11, s10, v8
	v_or_b32_e32 v13, 0x1000, v4
	v_add_u32_e32 v10, 0xfffffc10, v10
	v_med3_i32 v11, v14, 0, 13
	v_cmp_ne_u32_e32 vcc, 0, v4
	v_or_b32_e32 v15, 0x1000, v8
	v_lshrrev_b32_e32 v17, v6, v13
	v_add_u32_e32 v12, 0xfffffc10, v12
	v_lshl_or_b32 v14, v10, 12, v4
	v_cndmask_b32_e64 v4, 0, 1, vcc
	v_cmp_ne_u32_e32 vcc, 0, v8
	v_lshrrev_b32_e32 v18, v11, v15
	v_lshlrev_b32_e32 v6, v6, v17
	v_lshl_or_b32 v16, v12, 12, v8
	v_cndmask_b32_e64 v8, 0, 1, vcc
	v_lshlrev_b32_e32 v11, v11, v18
	v_cmp_ne_u32_e32 vcc, v6, v13
	v_cndmask_b32_e64 v6, 0, 1, vcc
	v_cmp_ne_u32_e32 vcc, v11, v15
	v_cndmask_b32_e64 v11, 0, 1, vcc
	v_or_b32_e32 v6, v17, v6
	v_cmp_gt_i32_e32 vcc, 1, v10
	v_cndmask_b32_e32 v6, v14, v6, vcc
	v_or_b32_e32 v11, v18, v11
	v_cmp_gt_i32_e32 vcc, 1, v12
	v_and_b32_e32 v13, 7, v6
	v_cndmask_b32_e32 v11, v16, v11, vcc
	v_cmp_lt_i32_e32 vcc, 5, v13
	v_cmp_eq_u32_e64 s[0:1], 3, v13
	v_lshrrev_b32_e32 v6, 2, v6
	v_and_b32_e32 v14, 7, v11
	s_or_b64 vcc, s[0:1], vcc
	v_cmp_lt_i32_e64 s[2:3], 5, v14
	v_cmp_eq_u32_e64 s[4:5], 3, v14
	v_addc_co_u32_e32 v6, vcc, 0, v6, vcc
	v_lshrrev_b32_e32 v11, 2, v11
	s_or_b64 vcc, s[4:5], s[2:3]
	v_addc_co_u32_e32 v11, vcc, 0, v11, vcc
	v_cmp_gt_i32_e32 vcc, 31, v10
	v_cndmask_b32_e32 v6, v0, v6, vcc
	v_cmp_gt_i32_e32 vcc, 31, v12
	v_lshl_or_b32 v4, v4, 9, v0
	v_cndmask_b32_e32 v11, v0, v11, vcc
	v_cmp_eq_u32_e32 vcc, s18, v10
	v_lshrrev_b32_e32 v7, 16, v7
	v_lshl_or_b32 v8, v8, 9, v0
	v_cndmask_b32_e32 v4, v6, v4, vcc
	v_cmp_eq_u32_e32 vcc, s18, v12
	v_lshrrev_b32_e32 v9, 16, v9
	v_cndmask_b32_e32 v6, v11, v8, vcc
	v_and_or_b32 v4, v7, s17, v4
	v_and_or_b32 v6, v9, s17, v6
	v_and_b32_e32 v4, 0xffff, v4
	v_lshl_or_b32 v4, v6, 16, v4
	global_store_dword v[2:3], v4, off
	global_load_dword v4, v45, s[6:7] offset:2160
	v_lshrrev_b32_e32 v6, 16, v5
	v_mov_b32_e32 v8, s9
	v_add_co_u32_e32 v2, vcc, s8, v2
	v_addc_co_u32_e32 v3, vcc, v3, v8, vcc
	s_waitcnt vmcnt(0)
	v_mul_f16_sdwa v7, v6, v4 dst_sel:DWORD dst_unused:UNUSED_PAD src0_sel:DWORD src1_sel:WORD_1
	v_fma_f16 v7, v5, v4, v7
	v_mul_f16_sdwa v5, v5, v4 dst_sel:DWORD dst_unused:UNUSED_PAD src0_sel:DWORD src1_sel:WORD_1
	v_cvt_f32_f16_e32 v7, v7
	v_fma_f16 v4, v4, v6, -v5
	v_cvt_f32_f16_e32 v6, v4
	v_cvt_f64_f32_e32 v[4:5], v7
	v_cvt_f64_f32_e32 v[6:7], v6
	v_mul_f64 v[4:5], v[4:5], s[14:15]
	v_mul_f64 v[6:7], v[6:7], s[14:15]
	v_and_or_b32 v4, v5, s16, v4
	v_cmp_ne_u32_e32 vcc, 0, v4
	v_and_or_b32 v6, v7, s16, v6
	v_lshrrev_b32_e32 v8, 8, v5
	v_bfe_u32 v9, v5, 20, 11
	v_cndmask_b32_e64 v4, 0, 1, vcc
	v_cmp_ne_u32_e32 vcc, 0, v6
	v_lshrrev_b32_e32 v10, 8, v7
	v_bfe_u32 v11, v7, 20, 11
	v_sub_u32_e32 v12, 0x3f1, v9
	v_cndmask_b32_e64 v6, 0, 1, vcc
	v_and_or_b32 v4, v8, s10, v4
	v_sub_u32_e32 v13, 0x3f1, v11
	v_med3_i32 v8, v12, 0, 13
	v_and_or_b32 v6, v10, s10, v6
	v_or_b32_e32 v12, 0x1000, v4
	v_add_u32_e32 v9, 0xfffffc10, v9
	v_med3_i32 v10, v13, 0, 13
	v_cmp_ne_u32_e32 vcc, 0, v4
	v_or_b32_e32 v14, 0x1000, v6
	v_lshrrev_b32_e32 v16, v8, v12
	v_add_u32_e32 v11, 0xfffffc10, v11
	v_lshl_or_b32 v13, v9, 12, v4
	v_cndmask_b32_e64 v4, 0, 1, vcc
	v_cmp_ne_u32_e32 vcc, 0, v6
	v_lshrrev_b32_e32 v17, v10, v14
	v_lshlrev_b32_e32 v8, v8, v16
	v_lshl_or_b32 v15, v11, 12, v6
	v_cndmask_b32_e64 v6, 0, 1, vcc
	v_lshlrev_b32_e32 v10, v10, v17
	v_cmp_ne_u32_e32 vcc, v8, v12
	v_cndmask_b32_e64 v8, 0, 1, vcc
	v_cmp_ne_u32_e32 vcc, v10, v14
	v_cndmask_b32_e64 v10, 0, 1, vcc
	v_or_b32_e32 v8, v16, v8
	v_cmp_gt_i32_e32 vcc, 1, v9
	v_cndmask_b32_e32 v8, v13, v8, vcc
	v_or_b32_e32 v10, v17, v10
	v_cmp_gt_i32_e32 vcc, 1, v11
	v_and_b32_e32 v12, 7, v8
	v_cndmask_b32_e32 v10, v15, v10, vcc
	v_cmp_lt_i32_e32 vcc, 5, v12
	v_cmp_eq_u32_e64 s[0:1], 3, v12
	v_lshrrev_b32_e32 v8, 2, v8
	v_and_b32_e32 v13, 7, v10
	s_or_b64 vcc, s[0:1], vcc
	v_cmp_lt_i32_e64 s[2:3], 5, v13
	v_cmp_eq_u32_e64 s[4:5], 3, v13
	v_addc_co_u32_e32 v8, vcc, 0, v8, vcc
	v_lshrrev_b32_e32 v10, 2, v10
	s_or_b64 vcc, s[4:5], s[2:3]
	v_addc_co_u32_e32 v10, vcc, 0, v10, vcc
	v_cmp_gt_i32_e32 vcc, 31, v9
	v_cndmask_b32_e32 v8, v0, v8, vcc
	v_cmp_gt_i32_e32 vcc, 31, v11
	v_lshl_or_b32 v4, v4, 9, v0
	v_cndmask_b32_e32 v10, v0, v10, vcc
	v_cmp_eq_u32_e32 vcc, s18, v9
	v_lshrrev_b32_e32 v5, 16, v5
	v_lshl_or_b32 v6, v6, 9, v0
	v_cndmask_b32_e32 v4, v8, v4, vcc
	v_cmp_eq_u32_e32 vcc, s18, v11
	v_lshrrev_b32_e32 v7, 16, v7
	v_cndmask_b32_e32 v6, v10, v6, vcc
	v_and_or_b32 v4, v5, s17, v4
	v_and_or_b32 v5, v7, s17, v6
	v_and_b32_e32 v4, 0xffff, v4
	v_lshl_or_b32 v4, v5, 16, v4
	global_store_dword v[2:3], v4, off
	global_load_dword v6, v45, s[6:7] offset:2340
	v_add_u32_e32 v10, 0x800, v1
	ds_read2_b32 v[4:5], v10 offset0:73 offset1:118
	s_waitcnt lgkmcnt(0)
	v_lshrrev_b32_e32 v1, 16, v4
	s_waitcnt vmcnt(0)
	v_mul_f16_sdwa v7, v1, v6 dst_sel:DWORD dst_unused:UNUSED_PAD src0_sel:DWORD src1_sel:WORD_1
	v_fma_f16 v7, v4, v6, v7
	v_mul_f16_sdwa v4, v4, v6 dst_sel:DWORD dst_unused:UNUSED_PAD src0_sel:DWORD src1_sel:WORD_1
	v_cvt_f32_f16_e32 v7, v7
	v_fma_f16 v1, v6, v1, -v4
	v_cvt_f32_f16_e32 v1, v1
	v_mov_b32_e32 v4, s9
	v_cvt_f64_f32_e32 v[6:7], v7
	v_cvt_f64_f32_e32 v[8:9], v1
	v_add_co_u32_e32 v1, vcc, s8, v2
	v_mul_f64 v[6:7], v[6:7], s[14:15]
	v_mul_f64 v[8:9], v[8:9], s[14:15]
	v_addc_co_u32_e32 v2, vcc, v3, v4, vcc
	v_and_or_b32 v3, v7, s16, v6
	v_and_or_b32 v8, v9, s16, v8
	v_cmp_ne_u32_e32 vcc, 0, v3
	v_lshrrev_b32_e32 v4, 8, v7
	v_bfe_u32 v6, v7, 20, 11
	v_cndmask_b32_e64 v3, 0, 1, vcc
	v_cmp_ne_u32_e32 vcc, 0, v8
	v_lshrrev_b32_e32 v11, 8, v9
	v_bfe_u32 v12, v9, 20, 11
	v_sub_u32_e32 v13, 0x3f1, v6
	v_cndmask_b32_e64 v8, 0, 1, vcc
	v_and_or_b32 v3, v4, s10, v3
	v_sub_u32_e32 v14, 0x3f1, v12
	v_med3_i32 v4, v13, 0, 13
	v_and_or_b32 v8, v11, s10, v8
	v_or_b32_e32 v13, 0x1000, v3
	v_add_u32_e32 v6, 0xfffffc10, v6
	v_med3_i32 v11, v14, 0, 13
	v_cmp_ne_u32_e32 vcc, 0, v3
	v_or_b32_e32 v15, 0x1000, v8
	v_lshrrev_b32_e32 v17, v4, v13
	v_add_u32_e32 v12, 0xfffffc10, v12
	v_lshl_or_b32 v14, v6, 12, v3
	v_cndmask_b32_e64 v3, 0, 1, vcc
	v_cmp_ne_u32_e32 vcc, 0, v8
	v_lshrrev_b32_e32 v18, v11, v15
	v_lshlrev_b32_e32 v4, v4, v17
	v_lshl_or_b32 v16, v12, 12, v8
	v_cndmask_b32_e64 v8, 0, 1, vcc
	v_lshlrev_b32_e32 v11, v11, v18
	v_cmp_ne_u32_e32 vcc, v4, v13
	v_cndmask_b32_e64 v4, 0, 1, vcc
	v_cmp_ne_u32_e32 vcc, v11, v15
	v_cndmask_b32_e64 v11, 0, 1, vcc
	v_or_b32_e32 v4, v17, v4
	v_cmp_gt_i32_e32 vcc, 1, v6
	v_cndmask_b32_e32 v4, v14, v4, vcc
	v_or_b32_e32 v11, v18, v11
	v_cmp_gt_i32_e32 vcc, 1, v12
	v_and_b32_e32 v13, 7, v4
	v_cndmask_b32_e32 v11, v16, v11, vcc
	v_cmp_lt_i32_e32 vcc, 5, v13
	v_cmp_eq_u32_e64 s[0:1], 3, v13
	v_lshrrev_b32_e32 v4, 2, v4
	v_and_b32_e32 v14, 7, v11
	s_or_b64 vcc, s[0:1], vcc
	v_cmp_lt_i32_e64 s[2:3], 5, v14
	v_cmp_eq_u32_e64 s[4:5], 3, v14
	v_addc_co_u32_e32 v4, vcc, 0, v4, vcc
	v_lshrrev_b32_e32 v11, 2, v11
	s_or_b64 vcc, s[4:5], s[2:3]
	v_addc_co_u32_e32 v11, vcc, 0, v11, vcc
	v_cmp_gt_i32_e32 vcc, 31, v6
	v_cndmask_b32_e32 v4, v0, v4, vcc
	v_cmp_gt_i32_e32 vcc, 31, v12
	v_lshl_or_b32 v3, v3, 9, v0
	v_cndmask_b32_e32 v11, v0, v11, vcc
	v_cmp_eq_u32_e32 vcc, s18, v6
	v_lshrrev_b32_e32 v7, 16, v7
	v_lshl_or_b32 v8, v8, 9, v0
	v_cndmask_b32_e32 v3, v4, v3, vcc
	v_cmp_eq_u32_e32 vcc, s18, v12
	v_lshrrev_b32_e32 v9, 16, v9
	v_cndmask_b32_e32 v4, v11, v8, vcc
	v_and_or_b32 v3, v7, s17, v3
	v_and_or_b32 v4, v9, s17, v4
	v_and_b32_e32 v3, 0xffff, v3
	v_lshl_or_b32 v3, v4, 16, v3
	global_store_dword v[1:2], v3, off
	global_load_dword v3, v45, s[6:7] offset:2520
	v_lshrrev_b32_e32 v4, 16, v5
	v_mov_b32_e32 v7, s9
	v_add_co_u32_e32 v1, vcc, s8, v1
	v_addc_co_u32_e32 v2, vcc, v2, v7, vcc
	s_waitcnt vmcnt(0)
	v_mul_f16_sdwa v6, v4, v3 dst_sel:DWORD dst_unused:UNUSED_PAD src0_sel:DWORD src1_sel:WORD_1
	v_fma_f16 v6, v5, v3, v6
	v_mul_f16_sdwa v5, v5, v3 dst_sel:DWORD dst_unused:UNUSED_PAD src0_sel:DWORD src1_sel:WORD_1
	v_cvt_f32_f16_e32 v6, v6
	v_fma_f16 v3, v3, v4, -v5
	v_cvt_f32_f16_e32 v5, v3
	v_cvt_f64_f32_e32 v[3:4], v6
	v_cvt_f64_f32_e32 v[5:6], v5
	v_mul_f64 v[3:4], v[3:4], s[14:15]
	v_mul_f64 v[5:6], v[5:6], s[14:15]
	v_and_or_b32 v3, v4, s16, v3
	v_cmp_ne_u32_e32 vcc, 0, v3
	v_and_or_b32 v5, v6, s16, v5
	v_lshrrev_b32_e32 v7, 8, v4
	v_bfe_u32 v8, v4, 20, 11
	v_cndmask_b32_e64 v3, 0, 1, vcc
	v_cmp_ne_u32_e32 vcc, 0, v5
	v_lshrrev_b32_e32 v9, 8, v6
	v_bfe_u32 v11, v6, 20, 11
	v_sub_u32_e32 v12, 0x3f1, v8
	v_cndmask_b32_e64 v5, 0, 1, vcc
	v_and_or_b32 v3, v7, s10, v3
	v_sub_u32_e32 v13, 0x3f1, v11
	v_med3_i32 v7, v12, 0, 13
	v_and_or_b32 v5, v9, s10, v5
	v_or_b32_e32 v12, 0x1000, v3
	v_add_u32_e32 v8, 0xfffffc10, v8
	v_med3_i32 v9, v13, 0, 13
	v_cmp_ne_u32_e32 vcc, 0, v3
	v_or_b32_e32 v14, 0x1000, v5
	v_lshrrev_b32_e32 v16, v7, v12
	v_add_u32_e32 v11, 0xfffffc10, v11
	v_lshl_or_b32 v13, v8, 12, v3
	v_cndmask_b32_e64 v3, 0, 1, vcc
	v_cmp_ne_u32_e32 vcc, 0, v5
	v_lshrrev_b32_e32 v17, v9, v14
	v_lshlrev_b32_e32 v7, v7, v16
	v_lshl_or_b32 v15, v11, 12, v5
	v_cndmask_b32_e64 v5, 0, 1, vcc
	v_lshlrev_b32_e32 v9, v9, v17
	v_cmp_ne_u32_e32 vcc, v7, v12
	v_cndmask_b32_e64 v7, 0, 1, vcc
	v_cmp_ne_u32_e32 vcc, v9, v14
	v_cndmask_b32_e64 v9, 0, 1, vcc
	v_or_b32_e32 v7, v16, v7
	v_cmp_gt_i32_e32 vcc, 1, v8
	v_cndmask_b32_e32 v7, v13, v7, vcc
	v_or_b32_e32 v9, v17, v9
	v_cmp_gt_i32_e32 vcc, 1, v11
	v_and_b32_e32 v12, 7, v7
	v_cndmask_b32_e32 v9, v15, v9, vcc
	v_cmp_lt_i32_e32 vcc, 5, v12
	v_cmp_eq_u32_e64 s[0:1], 3, v12
	v_lshrrev_b32_e32 v7, 2, v7
	v_and_b32_e32 v13, 7, v9
	s_or_b64 vcc, s[0:1], vcc
	v_cmp_lt_i32_e64 s[2:3], 5, v13
	v_cmp_eq_u32_e64 s[4:5], 3, v13
	v_addc_co_u32_e32 v7, vcc, 0, v7, vcc
	v_lshrrev_b32_e32 v9, 2, v9
	s_or_b64 vcc, s[4:5], s[2:3]
	v_addc_co_u32_e32 v9, vcc, 0, v9, vcc
	v_cmp_gt_i32_e32 vcc, 31, v8
	v_cndmask_b32_e32 v7, v0, v7, vcc
	v_cmp_gt_i32_e32 vcc, 31, v11
	v_lshl_or_b32 v3, v3, 9, v0
	v_cndmask_b32_e32 v9, v0, v9, vcc
	v_cmp_eq_u32_e32 vcc, s18, v8
	v_lshrrev_b32_e32 v4, 16, v4
	v_lshl_or_b32 v5, v5, 9, v0
	v_cndmask_b32_e32 v3, v7, v3, vcc
	v_cmp_eq_u32_e32 vcc, s18, v11
	v_lshrrev_b32_e32 v6, 16, v6
	v_cndmask_b32_e32 v5, v9, v5, vcc
	v_and_or_b32 v3, v4, s17, v3
	v_and_or_b32 v4, v6, s17, v5
	v_and_b32_e32 v3, 0xffff, v3
	v_lshl_or_b32 v3, v4, 16, v3
	global_store_dword v[1:2], v3, off
	global_load_dword v5, v45, s[6:7] offset:2700
	ds_read2_b32 v[3:4], v10 offset0:163 offset1:208
	v_add_co_u32_e32 v1, vcc, s8, v1
	s_waitcnt lgkmcnt(0)
	v_lshrrev_b32_e32 v6, 16, v3
	s_waitcnt vmcnt(0)
	v_mul_f16_sdwa v7, v6, v5 dst_sel:DWORD dst_unused:UNUSED_PAD src0_sel:DWORD src1_sel:WORD_1
	v_fma_f16 v7, v3, v5, v7
	v_mul_f16_sdwa v3, v3, v5 dst_sel:DWORD dst_unused:UNUSED_PAD src0_sel:DWORD src1_sel:WORD_1
	v_cvt_f32_f16_e32 v7, v7
	v_fma_f16 v3, v5, v6, -v3
	v_cvt_f32_f16_e32 v3, v3
	v_cvt_f64_f32_e32 v[5:6], v7
	v_cvt_f64_f32_e32 v[7:8], v3
	v_mov_b32_e32 v3, s9
	v_mul_f64 v[5:6], v[5:6], s[14:15]
	v_addc_co_u32_e32 v2, vcc, v2, v3, vcc
	v_mul_f64 v[7:8], v[7:8], s[14:15]
	v_and_or_b32 v3, v6, s16, v5
	v_cmp_ne_u32_e32 vcc, 0, v3
	v_lshrrev_b32_e32 v5, 8, v6
	v_and_or_b32 v7, v8, s16, v7
	v_bfe_u32 v9, v6, 20, 11
	v_cndmask_b32_e64 v3, 0, 1, vcc
	v_cmp_ne_u32_e32 vcc, 0, v7
	v_lshrrev_b32_e32 v10, 8, v8
	v_bfe_u32 v11, v8, 20, 11
	v_sub_u32_e32 v12, 0x3f1, v9
	v_cndmask_b32_e64 v7, 0, 1, vcc
	v_and_or_b32 v3, v5, s10, v3
	v_sub_u32_e32 v13, 0x3f1, v11
	v_med3_i32 v5, v12, 0, 13
	v_and_or_b32 v7, v10, s10, v7
	v_or_b32_e32 v12, 0x1000, v3
	v_add_u32_e32 v9, 0xfffffc10, v9
	v_med3_i32 v10, v13, 0, 13
	v_cmp_ne_u32_e32 vcc, 0, v3
	v_or_b32_e32 v14, 0x1000, v7
	v_lshrrev_b32_e32 v16, v5, v12
	v_add_u32_e32 v11, 0xfffffc10, v11
	v_lshl_or_b32 v13, v9, 12, v3
	v_cndmask_b32_e64 v3, 0, 1, vcc
	v_cmp_ne_u32_e32 vcc, 0, v7
	v_lshrrev_b32_e32 v17, v10, v14
	v_lshlrev_b32_e32 v5, v5, v16
	v_lshl_or_b32 v15, v11, 12, v7
	v_cndmask_b32_e64 v7, 0, 1, vcc
	v_lshlrev_b32_e32 v10, v10, v17
	v_cmp_ne_u32_e32 vcc, v5, v12
	v_cndmask_b32_e64 v5, 0, 1, vcc
	v_cmp_ne_u32_e32 vcc, v10, v14
	v_cndmask_b32_e64 v10, 0, 1, vcc
	v_or_b32_e32 v5, v16, v5
	v_cmp_gt_i32_e32 vcc, 1, v9
	v_cndmask_b32_e32 v5, v13, v5, vcc
	v_or_b32_e32 v10, v17, v10
	v_cmp_gt_i32_e32 vcc, 1, v11
	v_and_b32_e32 v12, 7, v5
	v_cndmask_b32_e32 v10, v15, v10, vcc
	v_cmp_lt_i32_e32 vcc, 5, v12
	v_cmp_eq_u32_e64 s[0:1], 3, v12
	v_lshrrev_b32_e32 v5, 2, v5
	v_and_b32_e32 v13, 7, v10
	s_or_b64 vcc, s[0:1], vcc
	v_cmp_lt_i32_e64 s[2:3], 5, v13
	v_cmp_eq_u32_e64 s[4:5], 3, v13
	v_addc_co_u32_e32 v5, vcc, 0, v5, vcc
	v_lshrrev_b32_e32 v10, 2, v10
	s_or_b64 vcc, s[4:5], s[2:3]
	v_addc_co_u32_e32 v10, vcc, 0, v10, vcc
	v_cmp_gt_i32_e32 vcc, 31, v9
	v_cndmask_b32_e32 v5, v0, v5, vcc
	v_cmp_gt_i32_e32 vcc, 31, v11
	v_lshl_or_b32 v3, v3, 9, v0
	v_cndmask_b32_e32 v10, v0, v10, vcc
	v_cmp_eq_u32_e32 vcc, s18, v9
	v_lshrrev_b32_e32 v6, 16, v6
	v_lshl_or_b32 v7, v7, 9, v0
	v_cndmask_b32_e32 v3, v5, v3, vcc
	v_cmp_eq_u32_e32 vcc, s18, v11
	v_lshrrev_b32_e32 v8, 16, v8
	v_cndmask_b32_e32 v5, v10, v7, vcc
	v_and_or_b32 v3, v6, s17, v3
	v_and_or_b32 v5, v8, s17, v5
	v_and_b32_e32 v3, 0xffff, v3
	v_lshl_or_b32 v3, v5, 16, v3
	global_store_dword v[1:2], v3, off
	global_load_dword v3, v45, s[6:7] offset:2880
	v_lshrrev_b32_e32 v5, 16, v4
	v_mov_b32_e32 v7, s9
	s_waitcnt vmcnt(0)
	v_mul_f16_sdwa v6, v5, v3 dst_sel:DWORD dst_unused:UNUSED_PAD src0_sel:DWORD src1_sel:WORD_1
	v_fma_f16 v6, v4, v3, v6
	v_mul_f16_sdwa v4, v4, v3 dst_sel:DWORD dst_unused:UNUSED_PAD src0_sel:DWORD src1_sel:WORD_1
	v_cvt_f32_f16_e32 v6, v6
	v_fma_f16 v3, v3, v5, -v4
	v_cvt_f32_f16_e32 v5, v3
	v_cvt_f64_f32_e32 v[3:4], v6
	v_cvt_f64_f32_e32 v[5:6], v5
	v_mul_f64 v[3:4], v[3:4], s[14:15]
	v_mul_f64 v[5:6], v[5:6], s[14:15]
	v_and_or_b32 v3, v4, s16, v3
	v_cmp_ne_u32_e32 vcc, 0, v3
	v_and_or_b32 v5, v6, s16, v5
	v_lshrrev_b32_e32 v8, 8, v4
	v_bfe_u32 v9, v4, 20, 11
	v_cndmask_b32_e64 v3, 0, 1, vcc
	v_cmp_ne_u32_e32 vcc, 0, v5
	v_lshrrev_b32_e32 v10, 8, v6
	v_bfe_u32 v11, v6, 20, 11
	v_sub_u32_e32 v12, 0x3f1, v9
	v_cndmask_b32_e64 v5, 0, 1, vcc
	v_and_or_b32 v3, v8, s10, v3
	v_sub_u32_e32 v13, 0x3f1, v11
	v_med3_i32 v8, v12, 0, 13
	v_and_or_b32 v5, v10, s10, v5
	v_or_b32_e32 v12, 0x1000, v3
	v_add_u32_e32 v9, 0xfffffc10, v9
	v_med3_i32 v10, v13, 0, 13
	v_cmp_ne_u32_e32 vcc, 0, v3
	v_or_b32_e32 v14, 0x1000, v5
	v_lshrrev_b32_e32 v16, v8, v12
	v_add_u32_e32 v11, 0xfffffc10, v11
	v_lshl_or_b32 v13, v9, 12, v3
	v_cndmask_b32_e64 v3, 0, 1, vcc
	v_cmp_ne_u32_e32 vcc, 0, v5
	v_lshrrev_b32_e32 v17, v10, v14
	v_lshlrev_b32_e32 v8, v8, v16
	v_lshl_or_b32 v15, v11, 12, v5
	v_cndmask_b32_e64 v5, 0, 1, vcc
	v_lshlrev_b32_e32 v10, v10, v17
	v_cmp_ne_u32_e32 vcc, v8, v12
	v_cndmask_b32_e64 v8, 0, 1, vcc
	v_cmp_ne_u32_e32 vcc, v10, v14
	v_cndmask_b32_e64 v10, 0, 1, vcc
	v_or_b32_e32 v8, v16, v8
	v_cmp_gt_i32_e32 vcc, 1, v9
	v_cndmask_b32_e32 v8, v13, v8, vcc
	v_or_b32_e32 v10, v17, v10
	v_cmp_gt_i32_e32 vcc, 1, v11
	v_and_b32_e32 v12, 7, v8
	v_cndmask_b32_e32 v10, v15, v10, vcc
	v_cmp_lt_i32_e32 vcc, 5, v12
	v_cmp_eq_u32_e64 s[0:1], 3, v12
	v_lshrrev_b32_e32 v8, 2, v8
	v_and_b32_e32 v13, 7, v10
	s_or_b64 vcc, s[0:1], vcc
	v_cmp_lt_i32_e64 s[2:3], 5, v13
	v_cmp_eq_u32_e64 s[4:5], 3, v13
	v_addc_co_u32_e32 v8, vcc, 0, v8, vcc
	v_lshrrev_b32_e32 v10, 2, v10
	s_or_b64 vcc, s[4:5], s[2:3]
	v_addc_co_u32_e32 v10, vcc, 0, v10, vcc
	v_cmp_gt_i32_e32 vcc, 31, v9
	v_cndmask_b32_e32 v8, v0, v8, vcc
	v_cmp_gt_i32_e32 vcc, 31, v11
	v_lshl_or_b32 v3, v3, 9, v0
	v_lshl_or_b32 v5, v5, 9, v0
	v_cndmask_b32_e32 v0, v0, v10, vcc
	v_cmp_eq_u32_e32 vcc, s18, v9
	v_lshrrev_b32_e32 v4, 16, v4
	v_cndmask_b32_e32 v3, v8, v3, vcc
	v_cmp_eq_u32_e32 vcc, s18, v11
	v_lshrrev_b32_e32 v6, 16, v6
	v_cndmask_b32_e32 v0, v0, v5, vcc
	v_and_or_b32 v3, v4, s17, v3
	v_and_or_b32 v0, v6, s17, v0
	v_and_b32_e32 v3, 0xffff, v3
	v_lshl_or_b32 v3, v0, 16, v3
	v_add_co_u32_e32 v0, vcc, s8, v1
	v_addc_co_u32_e32 v1, vcc, v2, v7, vcc
	global_store_dword v[0:1], v3, off
.LBB0_15:
	s_endpgm
	.section	.rodata,"a",@progbits
	.p2align	6, 0x0
	.amdhsa_kernel bluestein_single_fwd_len765_dim1_half_op_CI_CI
		.amdhsa_group_segment_fixed_size 15300
		.amdhsa_private_segment_fixed_size 0
		.amdhsa_kernarg_size 104
		.amdhsa_user_sgpr_count 6
		.amdhsa_user_sgpr_private_segment_buffer 1
		.amdhsa_user_sgpr_dispatch_ptr 0
		.amdhsa_user_sgpr_queue_ptr 0
		.amdhsa_user_sgpr_kernarg_segment_ptr 1
		.amdhsa_user_sgpr_dispatch_id 0
		.amdhsa_user_sgpr_flat_scratch_init 0
		.amdhsa_user_sgpr_private_segment_size 0
		.amdhsa_uses_dynamic_stack 0
		.amdhsa_system_sgpr_private_segment_wavefront_offset 0
		.amdhsa_system_sgpr_workgroup_id_x 1
		.amdhsa_system_sgpr_workgroup_id_y 0
		.amdhsa_system_sgpr_workgroup_id_z 0
		.amdhsa_system_sgpr_workgroup_info 0
		.amdhsa_system_vgpr_workitem_id 0
		.amdhsa_next_free_vgpr 241
		.amdhsa_next_free_sgpr 35
		.amdhsa_reserve_vcc 1
		.amdhsa_reserve_flat_scratch 0
		.amdhsa_float_round_mode_32 0
		.amdhsa_float_round_mode_16_64 0
		.amdhsa_float_denorm_mode_32 3
		.amdhsa_float_denorm_mode_16_64 3
		.amdhsa_dx10_clamp 1
		.amdhsa_ieee_mode 1
		.amdhsa_fp16_overflow 0
		.amdhsa_exception_fp_ieee_invalid_op 0
		.amdhsa_exception_fp_denorm_src 0
		.amdhsa_exception_fp_ieee_div_zero 0
		.amdhsa_exception_fp_ieee_overflow 0
		.amdhsa_exception_fp_ieee_underflow 0
		.amdhsa_exception_fp_ieee_inexact 0
		.amdhsa_exception_int_div_zero 0
	.end_amdhsa_kernel
	.text
.Lfunc_end0:
	.size	bluestein_single_fwd_len765_dim1_half_op_CI_CI, .Lfunc_end0-bluestein_single_fwd_len765_dim1_half_op_CI_CI
                                        ; -- End function
	.section	.AMDGPU.csdata,"",@progbits
; Kernel info:
; codeLenInByte = 30212
; NumSgprs: 39
; NumVgprs: 241
; ScratchSize: 0
; MemoryBound: 0
; FloatMode: 240
; IeeeMode: 1
; LDSByteSize: 15300 bytes/workgroup (compile time only)
; SGPRBlocks: 4
; VGPRBlocks: 60
; NumSGPRsForWavesPerEU: 39
; NumVGPRsForWavesPerEU: 241
; Occupancy: 1
; WaveLimiterHint : 1
; COMPUTE_PGM_RSRC2:SCRATCH_EN: 0
; COMPUTE_PGM_RSRC2:USER_SGPR: 6
; COMPUTE_PGM_RSRC2:TRAP_HANDLER: 0
; COMPUTE_PGM_RSRC2:TGID_X_EN: 1
; COMPUTE_PGM_RSRC2:TGID_Y_EN: 0
; COMPUTE_PGM_RSRC2:TGID_Z_EN: 0
; COMPUTE_PGM_RSRC2:TIDIG_COMP_CNT: 0
	.type	__hip_cuid_9b9d2dcec273eeb0,@object ; @__hip_cuid_9b9d2dcec273eeb0
	.section	.bss,"aw",@nobits
	.globl	__hip_cuid_9b9d2dcec273eeb0
__hip_cuid_9b9d2dcec273eeb0:
	.byte	0                               ; 0x0
	.size	__hip_cuid_9b9d2dcec273eeb0, 1

	.ident	"AMD clang version 19.0.0git (https://github.com/RadeonOpenCompute/llvm-project roc-6.4.0 25133 c7fe45cf4b819c5991fe208aaa96edf142730f1d)"
	.section	".note.GNU-stack","",@progbits
	.addrsig
	.addrsig_sym __hip_cuid_9b9d2dcec273eeb0
	.amdgpu_metadata
---
amdhsa.kernels:
  - .args:
      - .actual_access:  read_only
        .address_space:  global
        .offset:         0
        .size:           8
        .value_kind:     global_buffer
      - .actual_access:  read_only
        .address_space:  global
        .offset:         8
        .size:           8
        .value_kind:     global_buffer
      - .actual_access:  read_only
        .address_space:  global
        .offset:         16
        .size:           8
        .value_kind:     global_buffer
      - .actual_access:  read_only
        .address_space:  global
        .offset:         24
        .size:           8
        .value_kind:     global_buffer
      - .actual_access:  read_only
        .address_space:  global
        .offset:         32
        .size:           8
        .value_kind:     global_buffer
      - .offset:         40
        .size:           8
        .value_kind:     by_value
      - .address_space:  global
        .offset:         48
        .size:           8
        .value_kind:     global_buffer
      - .address_space:  global
        .offset:         56
        .size:           8
        .value_kind:     global_buffer
      - .address_space:  global
        .offset:         64
        .size:           8
        .value_kind:     global_buffer
      - .address_space:  global
        .offset:         72
        .size:           8
        .value_kind:     global_buffer
      - .offset:         80
        .size:           4
        .value_kind:     by_value
      - .address_space:  global
        .offset:         88
        .size:           8
        .value_kind:     global_buffer
      - .address_space:  global
        .offset:         96
        .size:           8
        .value_kind:     global_buffer
    .group_segment_fixed_size: 15300
    .kernarg_segment_align: 8
    .kernarg_segment_size: 104
    .language:       OpenCL C
    .language_version:
      - 2
      - 0
    .max_flat_workgroup_size: 255
    .name:           bluestein_single_fwd_len765_dim1_half_op_CI_CI
    .private_segment_fixed_size: 0
    .sgpr_count:     39
    .sgpr_spill_count: 0
    .symbol:         bluestein_single_fwd_len765_dim1_half_op_CI_CI.kd
    .uniform_work_group_size: 1
    .uses_dynamic_stack: false
    .vgpr_count:     241
    .vgpr_spill_count: 0
    .wavefront_size: 64
amdhsa.target:   amdgcn-amd-amdhsa--gfx906
amdhsa.version:
  - 1
  - 2
...

	.end_amdgpu_metadata
